;; amdgpu-corpus repo=pytorch/pytorch kind=compiled arch=gfx1100 opt=O3
	.text
	.amdgcn_target "amdgcn-amd-amdhsa--gfx1100"
	.amdhsa_code_object_version 6
	.p2align	2                               ; -- Begin function _ZN2at6native25elementwise_kernel_helperILb0EZZZNS0_12_GLOBAL__N_130modified_bessel_k0_kernel_cudaERNS_18TensorIteratorBaseEENKUlvE_clEvENKUlvE_clEvEUldE_NS0_6memory8policies11unroll_baseILi256ESt5arrayIPcLm2EE23TrivialOffsetCalculatorILi1EjESF_NS8_15LoadWithoutCastENS8_16StoreWithoutCastELi4ELi1EEEEEvT0_T1_
	.type	_ZN2at6native25elementwise_kernel_helperILb0EZZZNS0_12_GLOBAL__N_130modified_bessel_k0_kernel_cudaERNS_18TensorIteratorBaseEENKUlvE_clEvENKUlvE_clEvEUldE_NS0_6memory8policies11unroll_baseILi256ESt5arrayIPcLm2EE23TrivialOffsetCalculatorILi1EjESF_NS8_15LoadWithoutCastENS8_16StoreWithoutCastELi4ELi1EEEEEvT0_T1_,@function
_ZN2at6native25elementwise_kernel_helperILb0EZZZNS0_12_GLOBAL__N_130modified_bessel_k0_kernel_cudaERNS_18TensorIteratorBaseEENKUlvE_clEvENKUlvE_clEvEUldE_NS0_6memory8policies11unroll_baseILi256ESt5arrayIPcLm2EE23TrivialOffsetCalculatorILi1EjESF_NS8_15LoadWithoutCastENS8_16StoreWithoutCastELi4ELi1EEEEEvT0_T1_: ; @_ZN2at6native25elementwise_kernel_helperILb0EZZZNS0_12_GLOBAL__N_130modified_bessel_k0_kernel_cudaERNS_18TensorIteratorBaseEENKUlvE_clEvENKUlvE_clEvEUldE_NS0_6memory8policies11unroll_baseILi256ESt5arrayIPcLm2EE23TrivialOffsetCalculatorILi1EjESF_NS8_15LoadWithoutCastENS8_16StoreWithoutCastELi4ELi1EEEEEvT0_T1_
; %bb.0:
	s_waitcnt vmcnt(0) expcnt(0) lgkmcnt(0)
	v_and_b32_e32 v22, 0x3ff, v31
	v_mov_b32_e32 v18, 0
	v_mov_b32_e32 v19, 0
	s_lshl_b32 s2, s12, 10
	s_delay_alu instid0(VALU_DEP_3) | instskip(SKIP_4) | instid1(VALU_DEP_4)
	v_add_nc_u32_e32 v23, 0x100, v22
	v_cmp_lt_i32_e64 s0, v22, v4
	v_or_b32_e32 v13, s2, v22
	v_dual_mov_b32 v21, v19 :: v_dual_mov_b32 v20, v18
	v_mov_b32_e32 v5, v22
	s_and_saveexec_b32 s1, s0
	s_cbranch_execz .LBB0_2
; %bb.1:
	v_mov_b32_e32 v14, 0
	s_delay_alu instid0(VALU_DEP_1) | instskip(NEXT) | instid1(VALU_DEP_1)
	v_lshlrev_b64 v[5:6], 3, v[13:14]
	v_add_co_u32 v5, vcc_lo, v2, v5
	s_delay_alu instid0(VALU_DEP_2)
	v_add_co_ci_u32_e32 v6, vcc_lo, v3, v6, vcc_lo
	flat_load_b64 v[20:21], v[5:6]
	v_add_nc_u32_e32 v5, 0x100, v22
.LBB0_2:
	s_or_b32 exec_lo, exec_lo, s1
	s_delay_alu instid0(SALU_CYCLE_1) | instskip(NEXT) | instid1(VALU_DEP_1)
	s_mov_b32 s1, exec_lo
	v_cmpx_lt_i32_e64 v5, v4
	s_cbranch_execz .LBB0_4
; %bb.3:
	v_dual_mov_b32 v7, 0 :: v_dual_add_nc_u32 v6, s2, v5
	v_add_nc_u32_e32 v5, 0x100, v5
	s_delay_alu instid0(VALU_DEP_2) | instskip(NEXT) | instid1(VALU_DEP_1)
	v_lshlrev_b64 v[6:7], 3, v[6:7]
	v_add_co_u32 v6, vcc_lo, v2, v6
	s_delay_alu instid0(VALU_DEP_2)
	v_add_co_ci_u32_e32 v7, vcc_lo, v3, v7, vcc_lo
	flat_load_b64 v[18:19], v[6:7]
.LBB0_4:
	s_or_b32 exec_lo, exec_lo, s1
	v_mov_b32_e32 v14, 0
	v_mov_b32_e32 v15, 0
	s_mov_b32 s1, exec_lo
	s_delay_alu instid0(VALU_DEP_1)
	v_dual_mov_b32 v17, v15 :: v_dual_mov_b32 v16, v14
	v_cmpx_lt_i32_e64 v5, v4
	s_cbranch_execnz .LBB0_8
; %bb.5:
	s_or_b32 exec_lo, exec_lo, s1
	s_delay_alu instid0(SALU_CYCLE_1)
	s_mov_b32 s1, exec_lo
	v_cmpx_lt_i32_e64 v5, v4
	s_cbranch_execnz .LBB0_9
.LBB0_6:
	s_or_b32 exec_lo, exec_lo, s1
                                        ; implicit-def: $vgpr5_vgpr6_vgpr7_vgpr8_vgpr9_vgpr10_vgpr11_vgpr12
	s_and_saveexec_b32 s3, s0
	s_cbranch_execnz .LBB0_10
.LBB0_7:
	s_or_b32 exec_lo, exec_lo, s3
	s_delay_alu instid0(SALU_CYCLE_1)
	s_mov_b32 s3, exec_lo
	v_cmpx_lt_i32_e64 v23, v4
	s_cbranch_execnz .LBB0_23
	s_branch .LBB0_36
.LBB0_8:
	v_dual_mov_b32 v7, 0 :: v_dual_add_nc_u32 v6, s2, v5
	v_add_nc_u32_e32 v5, 0x100, v5
	s_delay_alu instid0(VALU_DEP_2) | instskip(NEXT) | instid1(VALU_DEP_1)
	v_lshlrev_b64 v[6:7], 3, v[6:7]
	v_add_co_u32 v6, vcc_lo, v2, v6
	s_delay_alu instid0(VALU_DEP_2) | instskip(SKIP_2) | instid1(SALU_CYCLE_1)
	v_add_co_ci_u32_e32 v7, vcc_lo, v3, v7, vcc_lo
	flat_load_b64 v[16:17], v[6:7]
	s_or_b32 exec_lo, exec_lo, s1
	s_mov_b32 s1, exec_lo
	v_cmpx_lt_i32_e64 v5, v4
	s_cbranch_execz .LBB0_6
.LBB0_9:
	v_dual_mov_b32 v6, 0 :: v_dual_add_nc_u32 v5, s2, v5
	s_delay_alu instid0(VALU_DEP_1) | instskip(NEXT) | instid1(VALU_DEP_1)
	v_lshlrev_b64 v[5:6], 3, v[5:6]
	v_add_co_u32 v2, vcc_lo, v2, v5
	s_delay_alu instid0(VALU_DEP_2)
	v_add_co_ci_u32_e32 v3, vcc_lo, v3, v6, vcc_lo
	flat_load_b64 v[14:15], v[2:3]
	s_or_b32 exec_lo, exec_lo, s1
                                        ; implicit-def: $vgpr5_vgpr6_vgpr7_vgpr8_vgpr9_vgpr10_vgpr11_vgpr12
	s_and_saveexec_b32 s3, s0
	s_cbranch_execz .LBB0_7
.LBB0_10:
	v_mov_b32_e32 v5, 0
	v_mov_b32_e32 v6, 0x7ff00000
	s_mov_b32 s4, exec_lo
	s_waitcnt vmcnt(0) lgkmcnt(0)
	v_cmpx_neq_f64_e32 0, v[20:21]
	s_cbranch_execz .LBB0_22
; %bb.11:
	v_mov_b32_e32 v5, 0
	v_mov_b32_e32 v6, 0x7ff80000
	s_mov_b32 s5, exec_lo
	v_cmpx_ngt_f64_e32 0, v[20:21]
	s_cbranch_execz .LBB0_21
; %bb.12:
                                        ; implicit-def: $vgpr5_vgpr6
	s_mov_b32 s1, exec_lo
	v_cmpx_ge_f64_e32 2.0, v[20:21]
	s_xor_b32 s6, exec_lo, s1
	s_cbranch_execz .LBB0_18
; %bb.13:
	v_mul_f64 v[2:3], v[20:21], 0.5
	s_mov_b32 s1, exec_lo
                                        ; implicit-def: $vgpr5_vgpr6
	v_cmpx_ge_f64_e32 0x40200000, v[20:21]
	s_xor_b32 s1, exec_lo, s1
	s_cbranch_execz .LBB0_15
; %bb.14:
	s_delay_alu instid0(VALU_DEP_2)
	v_add_f64 v[5:6], v[2:3], -2.0
	s_mov_b32 s8, 0x977da589
	s_mov_b32 s9, 0x3c833362
	;; [unrolled: 1-line block ×4, first 2 shown]
	v_cmp_nlt_f64_e32 vcc_lo, 0x40900000, v[20:21]
	s_delay_alu instid0(VALU_DEP_2) | instskip(SKIP_3) | instid1(VALU_DEP_1)
	v_fma_f64 v[7:8], v[5:6], s[10:11], s[8:9]
	s_mov_b32 s11, 0x3c545cb7
	s_mov_b32 s8, 0x721ebbb4
	;; [unrolled: 1-line block ×3, first 2 shown]
	v_fma_f64 v[9:10], v[5:6], v[7:8], s[10:11]
	s_mov_b32 s10, 0x6a5dcb37
	s_mov_b32 s11, 0x3e5ade15
	s_delay_alu instid0(VALU_DEP_1) | instskip(SKIP_2) | instid1(VALU_DEP_1)
	v_add_f64 v[9:10], v[9:10], s[8:9]
	s_mov_b32 s8, 0x93f65eba
	s_mov_b32 s9, 0x3cdee6d8
	v_fma_f64 v[7:8], v[5:6], v[9:10], -v[7:8]
	s_delay_alu instid0(VALU_DEP_1) | instskip(SKIP_2) | instid1(VALU_DEP_1)
	v_add_f64 v[7:8], v[7:8], s[8:9]
	s_mov_b32 s8, 0xc297fbeb
	s_mov_b32 s9, 0xbd0a5022
	v_fma_f64 v[9:10], v[5:6], v[7:8], -v[9:10]
	;; [unrolled: 5-line block ×20, first 2 shown]
	s_delay_alu instid0(VALU_DEP_1) | instskip(SKIP_2) | instid1(SALU_CYCLE_1)
	v_add_f64 v[9:10], v[9:10], s[8:9]
	s_mov_b32 s8, 0x652b82fe
	s_mov_b32 s9, 0x3ff71547
	v_mul_f64 v[11:12], v[20:21], s[8:9]
	s_mov_b32 s8, 0xf3dde3dd
	s_mov_b32 s9, 0x3f859961
	s_delay_alu instid0(VALU_DEP_2) | instskip(NEXT) | instid1(VALU_DEP_2)
	v_fma_f64 v[7:8], v[5:6], v[9:10], -v[7:8]
	v_rndne_f64_e32 v[11:12], v[11:12]
	s_delay_alu instid0(VALU_DEP_2)
	v_add_f64 v[7:8], v[7:8], s[8:9]
	s_mov_b32 s8, 0xfefa39ef
	s_mov_b32 s9, 0xbfe62e42
	s_delay_alu instid0(VALU_DEP_2) | instid1(SALU_CYCLE_1)
	v_fma_f64 v[24:25], v[11:12], s[8:9], v[20:21]
	s_mov_b32 s8, 0x3b39803f
	s_mov_b32 s9, 0xbc7abc9e
	s_delay_alu instid0(VALU_DEP_2) | instskip(NEXT) | instid1(VALU_DEP_2)
	v_fma_f64 v[9:10], v[5:6], v[7:8], -v[9:10]
	v_fma_f64 v[24:25], v[11:12], s[8:9], v[24:25]
	s_mov_b32 s8, 0xf121b6f0
	s_mov_b32 s9, 0xbf984e9e
	v_cvt_i32_f64_e32 v11, v[11:12]
	s_delay_alu instid0(VALU_DEP_3)
	v_add_f64 v[9:10], v[9:10], s[8:9]
	s_mov_b32 s8, 0xfca7ab0c
	s_mov_b32 s9, 0x3e928af3
	s_delay_alu instid0(VALU_DEP_3) | instid1(SALU_CYCLE_1)
	v_fma_f64 v[26:27], v[24:25], s[10:11], s[8:9]
	s_mov_b32 s8, 0x623fde64
	s_mov_b32 s9, 0x3ec71dee
	s_delay_alu instid0(VALU_DEP_2) | instskip(NEXT) | instid1(VALU_DEP_2)
	v_fma_f64 v[7:8], v[5:6], v[9:10], -v[7:8]
	v_fma_f64 v[26:27], v[24:25], v[26:27], s[8:9]
	s_mov_b32 s8, 0xcea8a32d
	s_mov_b32 s9, 0x3fa93e8a
	s_delay_alu instid0(VALU_DEP_2) | instid1(SALU_CYCLE_1)
	v_add_f64 v[7:8], v[7:8], s[8:9]
	s_mov_b32 s8, 0x7c89e6b0
	s_mov_b32 s9, 0x3efa0199
	s_delay_alu instid0(VALU_DEP_2) | instid1(SALU_CYCLE_1)
	v_fma_f64 v[26:27], v[24:25], v[26:27], s[8:9]
	s_mov_b32 s8, 0x14761f6e
	s_mov_b32 s9, 0x3f2a01a0
	s_delay_alu instid0(VALU_DEP_2) | instskip(NEXT) | instid1(VALU_DEP_2)
	v_fma_f64 v[9:10], v[5:6], v[7:8], -v[9:10]
	v_fma_f64 v[26:27], v[24:25], v[26:27], s[8:9]
	s_mov_b32 s8, 0x342d06ea
	s_mov_b32 s9, 0xbfb84b70
	s_delay_alu instid0(VALU_DEP_2) | instid1(SALU_CYCLE_1)
	v_add_f64 v[9:10], v[9:10], s[8:9]
	s_mov_b32 s8, 0x1852b7b0
	s_mov_b32 s9, 0x3f56c16c
	s_delay_alu instid0(VALU_DEP_2) | instid1(SALU_CYCLE_1)
	;; [unrolled: 13-line block ×4, first 2 shown]
	v_fma_f64 v[26:27], v[24:25], v[26:27], s[8:9]
	s_mov_b32 s8, 0x9035a22a
	s_mov_b32 s9, 0x3fe5a84e
	s_delay_alu instid0(VALU_DEP_2) | instskip(NEXT) | instid1(VALU_DEP_2)
	v_fma_f64 v[5:6], v[5:6], v[9:10], -v[7:8]
	v_fma_f64 v[9:10], v[24:25], v[26:27], 1.0
	s_delay_alu instid0(VALU_DEP_2) | instskip(NEXT) | instid1(VALU_DEP_2)
	v_add_f64 v[5:6], v[5:6], s[8:9]
	v_fma_f64 v[9:10], v[24:25], v[9:10], 1.0
	s_delay_alu instid0(VALU_DEP_2) | instskip(NEXT) | instid1(VALU_DEP_2)
	v_add_f64 v[5:6], v[5:6], -v[7:8]
	v_ldexp_f64 v[7:8], v[9:10], v11
	s_delay_alu instid0(VALU_DEP_2) | instskip(NEXT) | instid1(VALU_DEP_2)
	v_mul_f64 v[5:6], v[5:6], 0.5
	v_cndmask_b32_e32 v8, 0x7ff00000, v8, vcc_lo
	s_delay_alu instid0(VALU_DEP_3) | instskip(NEXT) | instid1(VALU_DEP_1)
	v_cndmask_b32_e32 v7, 0, v7, vcc_lo
	v_mul_f64 v[5:6], v[7:8], v[5:6]
.LBB0_15:
	s_and_not1_saveexec_b32 s7, s1
	s_cbranch_execz .LBB0_17
; %bb.16:
	v_div_scale_f64 v[5:6], null, v[20:21], v[20:21], 0x40400000
	v_div_scale_f64 v[11:12], vcc_lo, 0x40400000, v[20:21], 0x40400000
	s_mov_b32 s8, 0x66119130
	s_mov_b32 s9, 0xbc5646da
	;; [unrolled: 1-line block ×4, first 2 shown]
	v_cmp_nlt_f64_e64 s1, 0x40900000, v[20:21]
	s_delay_alu instid0(VALU_DEP_3) | instskip(SKIP_2) | instid1(VALU_DEP_1)
	v_rcp_f64_e32 v[7:8], v[5:6]
	s_waitcnt_depctr 0xfff
	v_fma_f64 v[9:10], -v[5:6], v[7:8], 1.0
	v_fma_f64 v[7:8], v[7:8], v[9:10], v[7:8]
	s_delay_alu instid0(VALU_DEP_1) | instskip(NEXT) | instid1(VALU_DEP_1)
	v_fma_f64 v[9:10], -v[5:6], v[7:8], 1.0
	v_fma_f64 v[7:8], v[7:8], v[9:10], v[7:8]
	s_delay_alu instid0(VALU_DEP_1) | instskip(NEXT) | instid1(VALU_DEP_1)
	v_mul_f64 v[9:10], v[11:12], v[7:8]
	v_fma_f64 v[5:6], -v[5:6], v[9:10], v[11:12]
	s_delay_alu instid0(VALU_DEP_1) | instskip(SKIP_1) | instid1(VALU_DEP_2)
	v_div_fmas_f64 v[5:6], v[5:6], v[7:8], v[9:10]
	v_cmp_gt_f64_e32 vcc_lo, 0x10000000, v[20:21]
	v_div_fixup_f64 v[5:6], v[5:6], v[20:21], 0x40400000
	v_cndmask_b32_e64 v28, 0, 1, vcc_lo
	s_delay_alu instid0(VALU_DEP_1) | instskip(NEXT) | instid1(VALU_DEP_1)
	v_lshlrev_b32_e32 v28, 8, v28
	v_ldexp_f64 v[28:29], v[20:21], v28
	s_delay_alu instid0(VALU_DEP_4) | instskip(NEXT) | instid1(VALU_DEP_2)
	v_add_f64 v[5:6], v[5:6], -2.0
	v_rsq_f64_e32 v[30:31], v[28:29]
	s_delay_alu instid0(VALU_DEP_1)
	v_fma_f64 v[7:8], v[5:6], s[10:11], s[8:9]
	s_mov_b32 s11, 0x3c60adb7
	s_mov_b32 s8, 0x12d98421
	;; [unrolled: 1-line block ×3, first 2 shown]
	s_waitcnt_depctr 0xfff
	v_mul_f64 v[32:33], v[28:29], v[30:31]
	v_mul_f64 v[30:31], v[30:31], 0.5
	v_fma_f64 v[9:10], v[5:6], v[7:8], s[10:11]
	s_mov_b32 s10, 0x6a5dcb37
	s_mov_b32 s11, 0x3e5ade15
	s_delay_alu instid0(VALU_DEP_2) | instskip(NEXT) | instid1(VALU_DEP_2)
	v_fma_f64 v[34:35], -v[30:31], v[32:33], 0.5
	v_add_f64 v[9:10], v[9:10], s[8:9]
	s_mov_b32 s8, 0x76041cd
	s_mov_b32 s9, 0x3c83f3dd
	s_delay_alu instid0(VALU_DEP_2) | instskip(SKIP_1) | instid1(VALU_DEP_3)
	v_fma_f64 v[32:33], v[32:33], v[34:35], v[32:33]
	v_fma_f64 v[30:31], v[30:31], v[34:35], v[30:31]
	v_fma_f64 v[7:8], v[5:6], v[9:10], -v[7:8]
	s_delay_alu instid0(VALU_DEP_3) | instskip(NEXT) | instid1(VALU_DEP_2)
	v_fma_f64 v[34:35], -v[32:33], v[32:33], v[28:29]
	v_add_f64 v[7:8], v[7:8], s[8:9]
	s_mov_b32 s8, 0xabd21fe4
	s_mov_b32 s9, 0xbcb4600b
	s_delay_alu instid0(VALU_DEP_1) | instskip(NEXT) | instid1(VALU_DEP_1)
	v_fma_f64 v[9:10], v[5:6], v[7:8], -v[9:10]
	v_add_f64 v[9:10], v[9:10], s[8:9]
	s_mov_b32 s8, 0xd908de38
	s_mov_b32 s9, 0xbcb8aee7
	s_delay_alu instid0(VALU_DEP_1) | instskip(NEXT) | instid1(VALU_DEP_1)
	v_fma_f64 v[7:8], v[5:6], v[9:10], -v[7:8]
	;; [unrolled: 5-line block ×14, first 2 shown]
	v_add_f64 v[7:8], v[7:8], s[8:9]
	s_mov_b32 s8, 0x652b82fe
	s_mov_b32 s9, 0x3ff71547
	s_delay_alu instid0(SALU_CYCLE_1) | instskip(SKIP_2) | instid1(VALU_DEP_2)
	v_mul_f64 v[11:12], v[20:21], s[8:9]
	s_mov_b32 s8, 0xa9225b87
	s_mov_b32 s9, 0x3e2d2c64
	v_fma_f64 v[9:10], v[5:6], v[7:8], -v[9:10]
	s_delay_alu instid0(VALU_DEP_2) | instskip(NEXT) | instid1(VALU_DEP_2)
	v_rndne_f64_e32 v[11:12], v[11:12]
	v_add_f64 v[9:10], v[9:10], s[8:9]
	s_mov_b32 s8, 0xfefa39ef
	s_mov_b32 s9, 0xbfe62e42
	s_delay_alu instid0(VALU_DEP_2) | instid1(SALU_CYCLE_1)
	v_fma_f64 v[24:25], v[11:12], s[8:9], v[20:21]
	s_mov_b32 s8, 0x3b39803f
	s_mov_b32 s9, 0xbc7abc9e
	s_delay_alu instid0(VALU_DEP_2) | instskip(NEXT) | instid1(VALU_DEP_2)
	v_fma_f64 v[7:8], v[5:6], v[9:10], -v[7:8]
	v_fma_f64 v[24:25], v[11:12], s[8:9], v[24:25]
	s_mov_b32 s8, 0x80d6d56d
	s_mov_b32 s9, 0x3e585692
	s_delay_alu instid0(VALU_DEP_2) | instid1(SALU_CYCLE_1)
	v_add_f64 v[7:8], v[7:8], s[8:9]
	s_mov_b32 s8, 0xfca7ab0c
	s_mov_b32 s9, 0x3e928af3
	s_delay_alu instid0(VALU_DEP_2) | instid1(SALU_CYCLE_1)
	v_fma_f64 v[26:27], v[24:25], s[10:11], s[8:9]
	s_mov_b32 s8, 0x623fde64
	s_mov_b32 s9, 0x3ec71dee
	s_delay_alu instid0(VALU_DEP_2) | instskip(NEXT) | instid1(VALU_DEP_2)
	v_fma_f64 v[9:10], v[5:6], v[7:8], -v[9:10]
	v_fma_f64 v[26:27], v[24:25], v[26:27], s[8:9]
	s_mov_b32 s8, 0xd9cd616e
	s_mov_b32 s9, 0x3e8b8007
	s_delay_alu instid0(VALU_DEP_2) | instid1(SALU_CYCLE_1)
	v_add_f64 v[9:10], v[9:10], s[8:9]
	s_mov_b32 s8, 0x7c89e6b0
	s_mov_b32 s9, 0x3efa0199
	s_delay_alu instid0(VALU_DEP_2) | instid1(SALU_CYCLE_1)
	v_fma_f64 v[26:27], v[24:25], v[26:27], s[8:9]
	s_mov_b32 s8, 0x14761f6e
	s_mov_b32 s9, 0x3f2a01a0
	s_delay_alu instid0(VALU_DEP_2) | instskip(NEXT) | instid1(VALU_DEP_2)
	v_fma_f64 v[7:8], v[5:6], v[9:10], -v[7:8]
	v_fma_f64 v[26:27], v[24:25], v[26:27], s[8:9]
	s_mov_b32 s8, 0xc101c586
	s_mov_b32 s9, 0x3ec8412b
	s_delay_alu instid0(VALU_DEP_2) | instid1(SALU_CYCLE_1)
	v_add_f64 v[7:8], v[7:8], s[8:9]
	s_mov_b32 s8, 0x1852b7b0
	s_mov_b32 s9, 0x3f56c16c
	s_delay_alu instid0(VALU_DEP_2) | instid1(SALU_CYCLE_1)
	v_fma_f64 v[26:27], v[24:25], v[26:27], s[8:9]
	s_mov_b32 s8, 0x11122322
	s_mov_b32 s9, 0x3f811111
	s_delay_alu instid0(VALU_DEP_2) | instskip(NEXT) | instid1(VALU_DEP_2)
	v_fma_f64 v[9:10], v[5:6], v[7:8], -v[9:10]
	v_fma_f64 v[26:27], v[24:25], v[26:27], s[8:9]
	s_mov_b32 s8, 0x78999e52
	s_mov_b32 s9, 0x3f120fa3
	s_delay_alu instid0(VALU_DEP_2) | instid1(SALU_CYCLE_1)
	v_add_f64 v[9:10], v[9:10], s[8:9]
	s_mov_b32 s8, 0x555502a1
	s_mov_b32 s9, 0x3fa55555
	s_delay_alu instid0(VALU_DEP_2) | instid1(SALU_CYCLE_1)
	v_fma_f64 v[26:27], v[24:25], v[26:27], s[8:9]
	s_mov_b32 s8, 0x55555511
	s_mov_b32 s9, 0x3fc55555
	s_delay_alu instid0(VALU_DEP_2) | instskip(NEXT) | instid1(VALU_DEP_2)
	v_fma_f64 v[7:8], v[5:6], v[9:10], -v[7:8]
	v_fma_f64 v[26:27], v[24:25], v[26:27], s[8:9]
	s_mov_b32 s8, 0xa2e59049
	s_mov_b32 s9, 0x3f6b998c
	s_delay_alu instid0(VALU_DEP_2) | instid1(SALU_CYCLE_1)
	v_add_f64 v[7:8], v[7:8], s[8:9]
	s_mov_b32 s8, 11
	s_mov_b32 s9, 0x3fe00000
	s_delay_alu instid0(VALU_DEP_2) | instid1(SALU_CYCLE_1)
	v_fma_f64 v[26:27], v[24:25], v[26:27], s[8:9]
	s_mov_b32 s8, 0xaca809cb
	s_mov_b32 s9, 0x3fe9be62
	s_delay_alu instid0(VALU_DEP_2) | instskip(SKIP_2) | instid1(VALU_DEP_4)
	v_fma_f64 v[5:6], v[5:6], v[7:8], -v[9:10]
	v_fma_f64 v[7:8], v[34:35], v[30:31], v[32:33]
	v_cvt_i32_f64_e32 v32, v[11:12]
	v_fma_f64 v[26:27], v[24:25], v[26:27], 1.0
	s_delay_alu instid0(VALU_DEP_4) | instskip(NEXT) | instid1(VALU_DEP_4)
	v_add_f64 v[5:6], v[5:6], s[8:9]
	v_fma_f64 v[11:12], -v[7:8], v[7:8], v[28:29]
	s_delay_alu instid0(VALU_DEP_3) | instskip(NEXT) | instid1(VALU_DEP_3)
	v_fma_f64 v[24:25], v[24:25], v[26:27], 1.0
	v_add_f64 v[5:6], v[5:6], -v[9:10]
	s_delay_alu instid0(VALU_DEP_3) | instskip(SKIP_4) | instid1(VALU_DEP_4)
	v_fma_f64 v[7:8], v[11:12], v[30:31], v[7:8]
	v_cndmask_b32_e64 v11, 0, 0xffffff80, vcc_lo
	v_cmp_class_f64_e64 vcc_lo, v[28:29], 0x260
	v_ldexp_f64 v[9:10], v[24:25], v32
	v_mul_f64 v[5:6], v[5:6], 0.5
	v_ldexp_f64 v[7:8], v[7:8], v11
	s_delay_alu instid0(VALU_DEP_3) | instskip(NEXT) | instid1(VALU_DEP_4)
	v_cndmask_b32_e64 v10, 0x7ff00000, v10, s1
	v_cndmask_b32_e64 v9, 0, v9, s1
	s_delay_alu instid0(VALU_DEP_1) | instskip(NEXT) | instid1(VALU_DEP_4)
	v_mul_f64 v[5:6], v[9:10], v[5:6]
	v_dual_cndmask_b32 v8, v8, v29 :: v_dual_cndmask_b32 v7, v7, v28
	s_delay_alu instid0(VALU_DEP_1) | instskip(NEXT) | instid1(VALU_DEP_1)
	v_div_scale_f64 v[9:10], null, v[7:8], v[7:8], v[5:6]
	v_rcp_f64_e32 v[11:12], v[9:10]
	s_waitcnt_depctr 0xfff
	v_fma_f64 v[24:25], -v[9:10], v[11:12], 1.0
	s_delay_alu instid0(VALU_DEP_1) | instskip(NEXT) | instid1(VALU_DEP_1)
	v_fma_f64 v[11:12], v[11:12], v[24:25], v[11:12]
	v_fma_f64 v[24:25], -v[9:10], v[11:12], 1.0
	s_delay_alu instid0(VALU_DEP_1) | instskip(SKIP_1) | instid1(VALU_DEP_1)
	v_fma_f64 v[11:12], v[11:12], v[24:25], v[11:12]
	v_div_scale_f64 v[24:25], vcc_lo, v[5:6], v[7:8], v[5:6]
	v_mul_f64 v[26:27], v[24:25], v[11:12]
	s_delay_alu instid0(VALU_DEP_1) | instskip(NEXT) | instid1(VALU_DEP_1)
	v_fma_f64 v[9:10], -v[9:10], v[26:27], v[24:25]
	v_div_fmas_f64 v[9:10], v[9:10], v[11:12], v[26:27]
	s_delay_alu instid0(VALU_DEP_1)
	v_div_fixup_f64 v[5:6], v[9:10], v[7:8], v[5:6]
.LBB0_17:
	s_or_b32 exec_lo, exec_lo, s7
	s_delay_alu instid0(VALU_DEP_2)
	v_frexp_mant_f64_e32 v[7:8], v[2:3]
	s_mov_b32 s9, 0x3fe55555
	s_mov_b32 s8, 0x55555555
	v_mov_b32_e32 v9, 0
	s_mov_b32 s10, 0x6b47b09a
	s_mov_b32 s12, 0xbf559e2b
	;; [unrolled: 1-line block ×4, first 2 shown]
	v_fma_f64 v[20:21], v[20:21], v[20:21], -2.0
	s_delay_alu instid0(VALU_DEP_3) | instskip(SKIP_2) | instid1(VALU_DEP_1)
	v_cmp_gt_f64_e32 vcc_lo, s[8:9], v[7:8]
	s_mov_b32 s8, 0x55555780
	v_cndmask_b32_e64 v10, 0x3ff00000, 2.0, vcc_lo
	v_mul_f64 v[7:8], v[7:8], v[9:10]
	s_delay_alu instid0(VALU_DEP_1) | instskip(SKIP_1) | instid1(VALU_DEP_2)
	v_add_f64 v[9:10], v[7:8], 1.0
	v_add_f64 v[26:27], v[7:8], -1.0
	v_rcp_f64_e32 v[11:12], v[9:10]
	v_add_f64 v[28:29], v[9:10], -1.0
	s_delay_alu instid0(VALU_DEP_1) | instskip(SKIP_2) | instid1(VALU_DEP_1)
	v_add_f64 v[7:8], v[7:8], -v[28:29]
	s_waitcnt_depctr 0xfff
	v_fma_f64 v[24:25], -v[9:10], v[11:12], 1.0
	v_fma_f64 v[11:12], v[24:25], v[11:12], v[11:12]
	s_delay_alu instid0(VALU_DEP_1) | instskip(NEXT) | instid1(VALU_DEP_1)
	v_fma_f64 v[24:25], -v[9:10], v[11:12], 1.0
	v_fma_f64 v[11:12], v[24:25], v[11:12], v[11:12]
	s_delay_alu instid0(VALU_DEP_1) | instskip(NEXT) | instid1(VALU_DEP_1)
	v_mul_f64 v[24:25], v[26:27], v[11:12]
	v_mul_f64 v[30:31], v[9:10], v[24:25]
	s_delay_alu instid0(VALU_DEP_1) | instskip(NEXT) | instid1(VALU_DEP_1)
	v_fma_f64 v[9:10], v[24:25], v[9:10], -v[30:31]
	v_fma_f64 v[7:8], v[24:25], v[7:8], v[9:10]
	s_delay_alu instid0(VALU_DEP_1) | instskip(NEXT) | instid1(VALU_DEP_1)
	v_add_f64 v[9:10], v[30:31], v[7:8]
	v_add_f64 v[28:29], v[26:27], -v[9:10]
	v_add_f64 v[30:31], v[9:10], -v[30:31]
	s_delay_alu instid0(VALU_DEP_2) | instskip(NEXT) | instid1(VALU_DEP_2)
	v_add_f64 v[26:27], v[26:27], -v[28:29]
	v_add_f64 v[7:8], v[30:31], -v[7:8]
	v_frexp_exp_i32_f64_e32 v30, v[2:3]
	s_delay_alu instid0(VALU_DEP_3) | instskip(NEXT) | instid1(VALU_DEP_1)
	v_add_f64 v[9:10], v[26:27], -v[9:10]
	v_add_f64 v[7:8], v[7:8], v[9:10]
	s_delay_alu instid0(VALU_DEP_1) | instskip(NEXT) | instid1(VALU_DEP_1)
	v_add_f64 v[7:8], v[28:29], v[7:8]
	v_mul_f64 v[7:8], v[11:12], v[7:8]
	s_delay_alu instid0(VALU_DEP_1) | instskip(NEXT) | instid1(VALU_DEP_1)
	v_add_f64 v[9:10], v[24:25], v[7:8]
	v_mul_f64 v[11:12], v[9:10], v[9:10]
	s_delay_alu instid0(VALU_DEP_1) | instskip(SKIP_3) | instid1(VALU_DEP_2)
	v_fma_f64 v[26:27], v[11:12], s[12:13], s[10:11]
	s_mov_b32 s10, 0xd7f4df2e
	s_mov_b32 s11, 0x3fc7474d
	v_mul_f64 v[28:29], v[9:10], v[11:12]
	v_fma_f64 v[26:27], v[11:12], v[26:27], s[10:11]
	s_mov_b32 s10, 0x16291751
	s_mov_b32 s11, 0x3fcc71c0
	s_delay_alu instid0(VALU_DEP_1) | instid1(SALU_CYCLE_1)
	v_fma_f64 v[26:27], v[11:12], v[26:27], s[10:11]
	s_mov_b32 s10, 0x9b27acf1
	s_mov_b32 s11, 0x3fd24924
	s_delay_alu instid0(VALU_DEP_1) | instid1(SALU_CYCLE_1)
	;; [unrolled: 4-line block ×3, first 2 shown]
	v_fma_f64 v[26:27], v[11:12], v[26:27], s[10:11]
	s_mov_b32 s11, 0x3ca3cee1
	s_mov_b32 s10, 0xe6a7fd77
	s_delay_alu instid0(VALU_DEP_1) | instskip(SKIP_4) | instid1(VALU_DEP_3)
	v_fma_f64 v[11:12], v[11:12], v[26:27], s[8:9]
	v_ldexp_f64 v[26:27], v[9:10], 1
	v_add_f64 v[9:10], v[9:10], -v[24:25]
	s_mov_b32 s8, 0xc384c2aa
	s_mov_b32 s9, 0x3d27fb0a
	v_mul_f64 v[11:12], v[28:29], v[11:12]
	v_subrev_co_ci_u32_e32 v28, vcc_lo, 0, v30, vcc_lo
	v_fma_f64 v[30:31], v[20:21], s[10:11], s[8:9]
	s_mov_b32 s8, 0xfefa39ef
	s_mov_b32 s9, 0x3fe62e42
	s_delay_alu instid0(VALU_DEP_2) | instskip(SKIP_4) | instid1(VALU_DEP_4)
	v_cvt_f64_i32_e32 v[28:29], v28
	v_add_f64 v[7:8], v[7:8], -v[9:10]
	s_mov_b32 s11, 0xbca3cee1
	v_cmp_eq_f64_e32 vcc_lo, 0x7ff00000, v[2:3]
	v_add_f64 v[24:25], v[26:27], v[11:12]
	v_mul_f64 v[32:33], v[28:29], s[8:9]
	s_delay_alu instid0(VALU_DEP_4) | instskip(NEXT) | instid1(VALU_DEP_3)
	v_ldexp_f64 v[7:8], v[7:8], 1
	v_add_f64 v[9:10], v[24:25], -v[26:27]
	v_fma_f64 v[26:27], v[20:21], v[30:31], s[10:11]
	s_delay_alu instid0(VALU_DEP_4) | instskip(SKIP_2) | instid1(VALU_DEP_3)
	v_fma_f64 v[34:35], v[28:29], s[8:9], -v[32:33]
	s_mov_b32 s8, 0x47512144
	s_mov_b32 s9, 0x3da6c25c
	v_add_f64 v[9:10], v[11:12], -v[9:10]
	s_delay_alu instid0(VALU_DEP_3)
	v_add_f64 v[11:12], v[26:27], s[8:9]
	s_mov_b32 s8, 0x3b39803f
	s_mov_b32 s9, 0x3c7abc9e
	s_delay_alu instid0(VALU_DEP_3) | instid1(SALU_CYCLE_1)
	v_fma_f64 v[26:27], v[28:29], s[8:9], v[34:35]
	s_mov_b32 s8, 0x67e58a13
	s_mov_b32 s9, 0x3e205c13
	s_delay_alu instid0(VALU_DEP_3) | instskip(NEXT) | instid1(VALU_DEP_3)
	v_add_f64 v[7:8], v[7:8], v[9:10]
	v_fma_f64 v[9:10], v[20:21], v[11:12], -v[30:31]
	s_delay_alu instid0(VALU_DEP_3) | instskip(NEXT) | instid1(VALU_DEP_3)
	v_add_f64 v[28:29], v[32:33], v[26:27]
	v_add_f64 v[30:31], v[24:25], v[7:8]
	s_delay_alu instid0(VALU_DEP_3) | instskip(SKIP_2) | instid1(VALU_DEP_3)
	v_add_f64 v[9:10], v[9:10], s[8:9]
	s_mov_b32 s8, 0xe7f95efc
	s_mov_b32 s9, 0x3e9102bc
	v_add_f64 v[32:33], v[28:29], -v[32:33]
	s_delay_alu instid0(VALU_DEP_3) | instskip(NEXT) | instid1(VALU_DEP_3)
	v_add_f64 v[34:35], v[28:29], v[30:31]
	v_fma_f64 v[11:12], v[20:21], v[9:10], -v[11:12]
	v_add_f64 v[24:25], v[30:31], -v[24:25]
	s_delay_alu instid0(VALU_DEP_4) | instskip(NEXT) | instid1(VALU_DEP_4)
	v_add_f64 v[26:27], v[26:27], -v[32:33]
	v_add_f64 v[36:37], v[34:35], -v[28:29]
	s_delay_alu instid0(VALU_DEP_4) | instskip(NEXT) | instid1(VALU_DEP_4)
	v_add_f64 v[11:12], v[11:12], s[8:9]
	v_add_f64 v[7:8], v[7:8], -v[24:25]
	s_mov_b32 s8, 0xfe8cfca0
	s_mov_b32 s9, 0x3ef7f900
	s_delay_alu instid0(VALU_DEP_3) | instskip(NEXT) | instid1(VALU_DEP_3)
	v_add_f64 v[38:39], v[34:35], -v[36:37]
	v_fma_f64 v[9:10], v[20:21], v[11:12], -v[9:10]
	v_add_f64 v[24:25], v[30:31], -v[36:37]
	s_delay_alu instid0(VALU_DEP_4) | instskip(NEXT) | instid1(VALU_DEP_4)
	v_add_f64 v[30:31], v[26:27], v[7:8]
	v_add_f64 v[28:29], v[28:29], -v[38:39]
	s_delay_alu instid0(VALU_DEP_4) | instskip(SKIP_2) | instid1(VALU_DEP_2)
	v_add_f64 v[9:10], v[9:10], s[8:9]
	s_mov_b32 s8, 0x75633d73
	s_mov_b32 s9, 0x3f54b82e
	v_add_f64 v[24:25], v[24:25], v[28:29]
	s_delay_alu instid0(VALU_DEP_2) | instskip(SKIP_1) | instid1(VALU_DEP_3)
	v_fma_f64 v[11:12], v[20:21], v[9:10], -v[11:12]
	v_add_f64 v[28:29], v[30:31], -v[26:27]
	v_add_f64 v[24:25], v[30:31], v[24:25]
	s_delay_alu instid0(VALU_DEP_3) | instskip(NEXT) | instid1(VALU_DEP_3)
	v_add_f64 v[11:12], v[11:12], s[8:9]
	v_add_f64 v[30:31], v[30:31], -v[28:29]
	v_add_f64 v[7:8], v[7:8], -v[28:29]
	s_mov_b32 s8, 0x554a9085
	s_mov_b32 s9, 0x3fa26bf6
	s_delay_alu instid0(VALU_DEP_4) | instskip(NEXT) | instid1(VALU_DEP_4)
	v_add_f64 v[32:33], v[34:35], v[24:25]
	v_fma_f64 v[9:10], v[20:21], v[11:12], -v[9:10]
	s_delay_alu instid0(VALU_DEP_4) | instskip(NEXT) | instid1(VALU_DEP_3)
	v_add_f64 v[26:27], v[26:27], -v[30:31]
	v_add_f64 v[28:29], v[32:33], -v[34:35]
	s_delay_alu instid0(VALU_DEP_3) | instskip(NEXT) | instid1(VALU_DEP_3)
	v_add_f64 v[9:10], v[9:10], s[8:9]
	v_add_f64 v[7:8], v[7:8], v[26:27]
	s_mov_b32 s8, 0x81213db9
	s_mov_b32 s9, 0x3fd608d8
	s_delay_alu instid0(VALU_DEP_3) | instskip(NEXT) | instid1(VALU_DEP_3)
	v_add_f64 v[24:25], v[24:25], -v[28:29]
	v_fma_f64 v[11:12], v[20:21], v[9:10], -v[11:12]
	s_delay_alu instid0(VALU_DEP_2) | instskip(NEXT) | instid1(VALU_DEP_2)
	v_add_f64 v[7:8], v[7:8], v[24:25]
	v_add_f64 v[11:12], v[11:12], s[8:9]
	s_mov_b32 s8, 0xe9d2f61f
	s_mov_b32 s9, 0xbfe12166
	s_delay_alu instid0(VALU_DEP_2) | instskip(NEXT) | instid1(VALU_DEP_2)
	v_add_f64 v[7:8], v[32:33], v[7:8]
	v_fma_f64 v[11:12], v[20:21], v[11:12], -v[9:10]
                                        ; implicit-def: $vgpr20_vgpr21
	s_delay_alu instid0(VALU_DEP_2) | instskip(SKIP_1) | instid1(VALU_DEP_3)
	v_dual_cndmask_b32 v8, v8, v3 :: v_dual_cndmask_b32 v7, v7, v2
	v_cmp_neq_f64_e32 vcc_lo, 0, v[2:3]
	v_add_f64 v[2:3], v[11:12], s[8:9]
	s_delay_alu instid0(VALU_DEP_3) | instskip(NEXT) | instid1(VALU_DEP_4)
	v_cndmask_b32_e32 v8, 0xfff00000, v8, vcc_lo
	v_cndmask_b32_e32 v7, 0, v7, vcc_lo
	s_delay_alu instid0(VALU_DEP_3) | instskip(NEXT) | instid1(VALU_DEP_2)
	v_add_f64 v[2:3], v[2:3], -v[9:10]
	v_mul_f64 v[5:6], v[7:8], v[5:6]
	s_delay_alu instid0(VALU_DEP_1)
	v_fma_f64 v[5:6], v[2:3], 0.5, -v[5:6]
.LBB0_18:
	s_and_not1_saveexec_b32 s6, s6
	s_cbranch_execz .LBB0_20
; %bb.19:
	v_div_scale_f64 v[2:3], null, v[20:21], v[20:21], 0x40200000
	v_div_scale_f64 v[9:10], vcc_lo, 0x40200000, v[20:21], 0x40200000
	s_mov_b32 s8, 0x93812603
	s_mov_b32 s9, 0xbc72fecc
	s_mov_b32 s11, 0x3c5871a5
	s_mov_b32 s10, 0xcf8c9ee1
	v_cmp_nlt_f64_e64 s1, 0x4090cc00, v[20:21]
	s_delay_alu instid0(VALU_DEP_3) | instskip(SKIP_2) | instid1(VALU_DEP_1)
	v_rcp_f64_e32 v[5:6], v[2:3]
	s_waitcnt_depctr 0xfff
	v_fma_f64 v[7:8], -v[2:3], v[5:6], 1.0
	v_fma_f64 v[5:6], v[5:6], v[7:8], v[5:6]
	s_delay_alu instid0(VALU_DEP_1) | instskip(NEXT) | instid1(VALU_DEP_1)
	v_fma_f64 v[7:8], -v[2:3], v[5:6], 1.0
	v_fma_f64 v[5:6], v[5:6], v[7:8], v[5:6]
	s_delay_alu instid0(VALU_DEP_1) | instskip(NEXT) | instid1(VALU_DEP_1)
	v_mul_f64 v[7:8], v[9:10], v[5:6]
	v_fma_f64 v[2:3], -v[2:3], v[7:8], v[9:10]
	s_delay_alu instid0(VALU_DEP_1) | instskip(SKIP_1) | instid1(VALU_DEP_2)
	v_div_fmas_f64 v[2:3], v[2:3], v[5:6], v[7:8]
	v_cmp_gt_f64_e32 vcc_lo, 0x10000000, v[20:21]
	v_div_fixup_f64 v[2:3], v[2:3], v[20:21], 0x40200000
	v_cndmask_b32_e64 v26, 0, 1, vcc_lo
	s_delay_alu instid0(VALU_DEP_1) | instskip(NEXT) | instid1(VALU_DEP_1)
	v_lshlrev_b32_e32 v26, 8, v26
	v_ldexp_f64 v[26:27], v[20:21], v26
	s_delay_alu instid0(VALU_DEP_4) | instskip(NEXT) | instid1(VALU_DEP_2)
	v_add_f64 v[2:3], v[2:3], -2.0
	v_rsq_f64_e32 v[28:29], v[26:27]
	s_delay_alu instid0(VALU_DEP_1)
	v_fma_f64 v[5:6], v[2:3], s[10:11], s[8:9]
	s_mov_b32 s11, 0xbc5871a5
	s_mov_b32 s8, 0x41a8cdf4
	;; [unrolled: 1-line block ×3, first 2 shown]
	s_waitcnt_depctr 0xfff
	v_mul_f64 v[30:31], v[26:27], v[28:29]
	v_mul_f64 v[28:29], v[28:29], 0.5
	v_fma_f64 v[7:8], v[2:3], v[5:6], s[10:11]
	s_mov_b32 s10, 0x6a5dcb37
	s_mov_b32 s11, 0x3e5ade15
	s_delay_alu instid0(VALU_DEP_2) | instskip(NEXT) | instid1(VALU_DEP_2)
	v_fma_f64 v[32:33], -v[28:29], v[30:31], 0.5
	v_add_f64 v[7:8], v[7:8], s[8:9]
	s_mov_b32 s8, 0x74d77641
	s_mov_b32 s9, 0xbca82f94
	s_delay_alu instid0(VALU_DEP_2) | instskip(SKIP_1) | instid1(VALU_DEP_3)
	v_fma_f64 v[30:31], v[30:31], v[32:33], v[30:31]
	v_fma_f64 v[28:29], v[28:29], v[32:33], v[28:29]
	v_fma_f64 v[5:6], v[2:3], v[7:8], -v[5:6]
	s_delay_alu instid0(VALU_DEP_3) | instskip(NEXT) | instid1(VALU_DEP_2)
	v_fma_f64 v[32:33], -v[30:31], v[30:31], v[26:27]
	v_add_f64 v[5:6], v[5:6], s[8:9]
	s_mov_b32 s8, 0x6b94785b
	s_mov_b32 s9, 0x3cc3dbf9
	s_delay_alu instid0(VALU_DEP_1) | instskip(NEXT) | instid1(VALU_DEP_1)
	v_fma_f64 v[7:8], v[2:3], v[5:6], -v[7:8]
	v_add_f64 v[7:8], v[7:8], s[8:9]
	s_mov_b32 s8, 0xecfadd36
	s_mov_b32 s9, 0xbce0a690
	s_delay_alu instid0(VALU_DEP_1) | instskip(NEXT) | instid1(VALU_DEP_1)
	v_fma_f64 v[5:6], v[2:3], v[7:8], -v[5:6]
	;; [unrolled: 5-line block ×14, first 2 shown]
	v_add_f64 v[5:6], v[5:6], s[8:9]
	s_mov_b32 s8, 0x652b82fe
	s_mov_b32 s9, 0xbff71547
	s_delay_alu instid0(SALU_CYCLE_1) | instskip(SKIP_2) | instid1(VALU_DEP_2)
	v_mul_f64 v[9:10], v[20:21], s[8:9]
	s_mov_b32 s8, 0x81e3e46f
	s_mov_b32 s9, 0x3e929159
	v_fma_f64 v[7:8], v[2:3], v[5:6], -v[7:8]
	s_delay_alu instid0(VALU_DEP_2) | instskip(NEXT) | instid1(VALU_DEP_2)
	v_rndne_f64_e32 v[9:10], v[9:10]
	v_add_f64 v[7:8], v[7:8], s[8:9]
	s_mov_b32 s8, 0xfefa39ef
	s_mov_b32 s9, 0xbfe62e42
	s_delay_alu instid0(VALU_DEP_2) | instid1(SALU_CYCLE_1)
	v_fma_f64 v[11:12], v[9:10], s[8:9], -v[20:21]
	s_mov_b32 s8, 0x3b39803f
	s_mov_b32 s9, 0xbc7abc9e
	s_delay_alu instid0(VALU_DEP_2) | instskip(NEXT) | instid1(VALU_DEP_2)
	v_fma_f64 v[5:6], v[2:3], v[7:8], -v[5:6]
	v_fma_f64 v[11:12], v[9:10], s[8:9], v[11:12]
	s_mov_b32 s8, 0x7f18d3a9
	s_mov_b32 s9, 0xbebebb54
	s_delay_alu instid0(VALU_DEP_2) | instid1(SALU_CYCLE_1)
	v_add_f64 v[5:6], v[5:6], s[8:9]
	s_mov_b32 s8, 0xfca7ab0c
	s_mov_b32 s9, 0x3e928af3
	s_delay_alu instid0(VALU_DEP_2) | instid1(SALU_CYCLE_1)
	v_fma_f64 v[24:25], v[11:12], s[10:11], s[8:9]
	s_mov_b32 s8, 0x623fde64
	s_mov_b32 s9, 0x3ec71dee
	s_delay_alu instid0(VALU_DEP_2) | instskip(NEXT) | instid1(VALU_DEP_2)
	v_fma_f64 v[7:8], v[2:3], v[5:6], -v[7:8]
	v_fma_f64 v[24:25], v[11:12], v[24:25], s[8:9]
	s_mov_b32 s8, 0xcc7470a9
	s_mov_b32 s9, 0x3eed413f
	s_delay_alu instid0(VALU_DEP_2) | instid1(SALU_CYCLE_1)
	v_add_f64 v[7:8], v[7:8], s[8:9]
	s_mov_b32 s8, 0x7c89e6b0
	s_mov_b32 s9, 0x3efa0199
	s_delay_alu instid0(VALU_DEP_2) | instid1(SALU_CYCLE_1)
	v_fma_f64 v[24:25], v[11:12], v[24:25], s[8:9]
	;; [unrolled: 13-line block ×5, first 2 shown]
	s_mov_b32 s8, 0x9f4e6907
	s_mov_b32 s9, 0x400385bd
	s_delay_alu instid0(VALU_DEP_2) | instskip(SKIP_2) | instid1(VALU_DEP_4)
	v_fma_f64 v[2:3], v[2:3], v[5:6], -v[7:8]
	v_fma_f64 v[5:6], v[32:33], v[28:29], v[30:31]
	v_cvt_i32_f64_e32 v30, v[9:10]
	v_fma_f64 v[24:25], v[11:12], v[24:25], 1.0
	s_delay_alu instid0(VALU_DEP_4) | instskip(NEXT) | instid1(VALU_DEP_4)
	v_add_f64 v[2:3], v[2:3], s[8:9]
	v_fma_f64 v[9:10], -v[5:6], v[5:6], v[26:27]
	s_delay_alu instid0(VALU_DEP_3) | instskip(NEXT) | instid1(VALU_DEP_3)
	v_fma_f64 v[11:12], v[11:12], v[24:25], 1.0
	v_add_f64 v[2:3], v[2:3], -v[7:8]
	s_delay_alu instid0(VALU_DEP_3) | instskip(SKIP_4) | instid1(VALU_DEP_4)
	v_fma_f64 v[5:6], v[9:10], v[28:29], v[5:6]
	v_cndmask_b32_e64 v9, 0, 0xffffff80, vcc_lo
	v_cmp_class_f64_e64 vcc_lo, v[26:27], 0x260
	v_ldexp_f64 v[7:8], v[11:12], v30
	v_mul_f64 v[2:3], v[2:3], 0.5
	v_ldexp_f64 v[5:6], v[5:6], v9
	s_delay_alu instid0(VALU_DEP_3) | instskip(NEXT) | instid1(VALU_DEP_4)
	v_cndmask_b32_e64 v8, 0, v8, s1
	v_cndmask_b32_e64 v7, 0, v7, s1
	s_delay_alu instid0(VALU_DEP_1) | instskip(NEXT) | instid1(VALU_DEP_4)
	v_mul_f64 v[2:3], v[7:8], v[2:3]
	v_dual_cndmask_b32 v6, v6, v27 :: v_dual_cndmask_b32 v5, v5, v26
	s_delay_alu instid0(VALU_DEP_1) | instskip(NEXT) | instid1(VALU_DEP_1)
	v_div_scale_f64 v[7:8], null, v[5:6], v[5:6], v[2:3]
	v_rcp_f64_e32 v[9:10], v[7:8]
	s_waitcnt_depctr 0xfff
	v_fma_f64 v[11:12], -v[7:8], v[9:10], 1.0
	s_delay_alu instid0(VALU_DEP_1) | instskip(NEXT) | instid1(VALU_DEP_1)
	v_fma_f64 v[9:10], v[9:10], v[11:12], v[9:10]
	v_fma_f64 v[11:12], -v[7:8], v[9:10], 1.0
	s_delay_alu instid0(VALU_DEP_1) | instskip(SKIP_1) | instid1(VALU_DEP_1)
	v_fma_f64 v[9:10], v[9:10], v[11:12], v[9:10]
	v_div_scale_f64 v[11:12], vcc_lo, v[2:3], v[5:6], v[2:3]
	v_mul_f64 v[20:21], v[11:12], v[9:10]
	s_delay_alu instid0(VALU_DEP_1) | instskip(NEXT) | instid1(VALU_DEP_1)
	v_fma_f64 v[7:8], -v[7:8], v[20:21], v[11:12]
	v_div_fmas_f64 v[7:8], v[7:8], v[9:10], v[20:21]
	s_delay_alu instid0(VALU_DEP_1)
	v_div_fixup_f64 v[5:6], v[7:8], v[5:6], v[2:3]
.LBB0_20:
	s_or_b32 exec_lo, exec_lo, s6
.LBB0_21:
	s_delay_alu instid0(SALU_CYCLE_1)
	s_or_b32 exec_lo, exec_lo, s5
.LBB0_22:
	s_delay_alu instid0(SALU_CYCLE_1) | instskip(NEXT) | instid1(SALU_CYCLE_1)
	s_or_b32 exec_lo, exec_lo, s4
	s_or_b32 exec_lo, exec_lo, s3
	s_delay_alu instid0(SALU_CYCLE_1)
	s_mov_b32 s3, exec_lo
	v_cmpx_lt_i32_e64 v23, v4
	s_cbranch_execz .LBB0_36
.LBB0_23:
	v_mov_b32_e32 v7, 0
	v_mov_b32_e32 v8, 0x7ff00000
	s_mov_b32 s4, exec_lo
	s_waitcnt vmcnt(0) lgkmcnt(0)
	v_cmpx_neq_f64_e32 0, v[18:19]
	s_cbranch_execz .LBB0_35
; %bb.24:
	v_mov_b32_e32 v7, 0
	v_mov_b32_e32 v8, 0x7ff80000
	s_mov_b32 s5, exec_lo
	v_cmpx_ngt_f64_e32 0, v[18:19]
	s_cbranch_execz .LBB0_34
; %bb.25:
	s_mov_b32 s1, exec_lo
	v_cmpx_ge_f64_e32 2.0, v[18:19]
	s_xor_b32 s6, exec_lo, s1
	s_cbranch_execz .LBB0_31
; %bb.26:
	v_mul_f64 v[2:3], v[18:19], 0.5
	s_mov_b32 s1, exec_lo
                                        ; implicit-def: $vgpr7_vgpr8
	v_cmpx_ge_f64_e32 0x40200000, v[18:19]
	s_xor_b32 s1, exec_lo, s1
	s_cbranch_execz .LBB0_28
; %bb.27:
	s_delay_alu instid0(VALU_DEP_2)
	v_add_f64 v[7:8], v[2:3], -2.0
	s_mov_b32 s8, 0x977da589
	s_mov_b32 s9, 0x3c833362
	;; [unrolled: 1-line block ×4, first 2 shown]
	v_cmp_nlt_f64_e32 vcc_lo, 0x40900000, v[18:19]
	s_delay_alu instid0(VALU_DEP_2) | instskip(SKIP_3) | instid1(VALU_DEP_1)
	v_fma_f64 v[20:21], v[7:8], s[10:11], s[8:9]
	s_mov_b32 s11, 0x3c545cb7
	s_mov_b32 s8, 0x721ebbb4
	s_mov_b32 s9, 0xbcb184eb
	v_fma_f64 v[24:25], v[7:8], v[20:21], s[10:11]
	s_mov_b32 s10, 0x6a5dcb37
	s_mov_b32 s11, 0x3e5ade15
	s_delay_alu instid0(VALU_DEP_1) | instskip(SKIP_2) | instid1(VALU_DEP_1)
	v_add_f64 v[24:25], v[24:25], s[8:9]
	s_mov_b32 s8, 0x93f65eba
	s_mov_b32 s9, 0x3cdee6d8
	v_fma_f64 v[20:21], v[7:8], v[24:25], -v[20:21]
	s_delay_alu instid0(VALU_DEP_1) | instskip(SKIP_2) | instid1(VALU_DEP_1)
	v_add_f64 v[20:21], v[20:21], s[8:9]
	s_mov_b32 s8, 0xc297fbeb
	s_mov_b32 s9, 0xbd0a5022
	v_fma_f64 v[24:25], v[7:8], v[20:21], -v[24:25]
	s_delay_alu instid0(VALU_DEP_1) | instskip(SKIP_2) | instid1(VALU_DEP_1)
	v_add_f64 v[24:25], v[24:25], s[8:9]
	s_mov_b32 s8, 0x4b262627
	s_mov_b32 s9, 0x3d359b46
	v_fma_f64 v[20:21], v[7:8], v[24:25], -v[20:21]
	s_delay_alu instid0(VALU_DEP_1) | instskip(SKIP_2) | instid1(VALU_DEP_1)
	v_add_f64 v[20:21], v[20:21], s[8:9]
	s_mov_b32 s8, 0x62ee1af0
	s_mov_b32 s9, 0xbd61164c
	v_fma_f64 v[24:25], v[7:8], v[20:21], -v[24:25]
	s_delay_alu instid0(VALU_DEP_1) | instskip(SKIP_2) | instid1(VALU_DEP_1)
	v_add_f64 v[24:25], v[24:25], s[8:9]
	s_mov_b32 s8, 0xe19bd324
	s_mov_b32 s9, 0x3d89fe2f
	v_fma_f64 v[20:21], v[7:8], v[24:25], -v[20:21]
	s_delay_alu instid0(VALU_DEP_1) | instskip(SKIP_2) | instid1(VALU_DEP_1)
	v_add_f64 v[20:21], v[20:21], s[8:9]
	s_mov_b32 s8, 0x7a946abc
	s_mov_b32 s9, 0xbdb2fc95
	v_fma_f64 v[24:25], v[7:8], v[20:21], -v[24:25]
	s_delay_alu instid0(VALU_DEP_1) | instskip(SKIP_2) | instid1(VALU_DEP_1)
	v_add_f64 v[24:25], v[24:25], s[8:9]
	s_mov_b32 s8, 0xcc743c10
	s_mov_b32 s9, 0x3dda98be
	v_fma_f64 v[20:21], v[7:8], v[24:25], -v[20:21]
	s_delay_alu instid0(VALU_DEP_1) | instskip(SKIP_2) | instid1(VALU_DEP_1)
	v_add_f64 v[20:21], v[20:21], s[8:9]
	s_mov_b32 s8, 0x13ae9556
	s_mov_b32 s9, 0xbe01d4fe
	v_fma_f64 v[24:25], v[7:8], v[20:21], -v[24:25]
	s_delay_alu instid0(VALU_DEP_1) | instskip(SKIP_2) | instid1(VALU_DEP_1)
	v_add_f64 v[24:25], v[24:25], s[8:9]
	s_mov_b32 s8, 0xa454cb34
	s_mov_b32 s9, 0x3e26d903
	v_fma_f64 v[20:21], v[7:8], v[24:25], -v[20:21]
	s_delay_alu instid0(VALU_DEP_1) | instskip(SKIP_2) | instid1(VALU_DEP_1)
	v_add_f64 v[20:21], v[20:21], s[8:9]
	s_mov_b32 s8, 0x8c0b30ab
	s_mov_b32 s9, 0xbe4beaf6
	v_fma_f64 v[24:25], v[7:8], v[20:21], -v[24:25]
	s_delay_alu instid0(VALU_DEP_1) | instskip(SKIP_2) | instid1(VALU_DEP_1)
	v_add_f64 v[24:25], v[24:25], s[8:9]
	s_mov_b32 s8, 0x9d4d6435
	s_mov_b32 s9, 0x3e703b76
	v_fma_f64 v[20:21], v[7:8], v[24:25], -v[20:21]
	s_delay_alu instid0(VALU_DEP_1) | instskip(SKIP_2) | instid1(VALU_DEP_1)
	v_add_f64 v[20:21], v[20:21], s[8:9]
	s_mov_b32 s8, 0x8f227f8d
	s_mov_b32 s9, 0xbe91ec63
	v_fma_f64 v[24:25], v[7:8], v[20:21], -v[24:25]
	s_delay_alu instid0(VALU_DEP_1) | instskip(SKIP_2) | instid1(VALU_DEP_1)
	v_add_f64 v[24:25], v[24:25], s[8:9]
	s_mov_b32 s8, 0x978cf4ac
	s_mov_b32 s9, 0x3eb2bf24
	v_fma_f64 v[20:21], v[7:8], v[24:25], -v[20:21]
	s_delay_alu instid0(VALU_DEP_1) | instskip(SKIP_2) | instid1(VALU_DEP_1)
	v_add_f64 v[20:21], v[20:21], s[8:9]
	s_mov_b32 s8, 0xcba56427
	s_mov_b32 s9, 0xbed2866f
	v_fma_f64 v[24:25], v[7:8], v[20:21], -v[24:25]
	s_delay_alu instid0(VALU_DEP_1) | instskip(SKIP_2) | instid1(VALU_DEP_1)
	v_add_f64 v[24:25], v[24:25], s[8:9]
	s_mov_b32 s8, 0xbe9a2859
	s_mov_b32 s9, 0x3ef13f58
	v_fma_f64 v[20:21], v[7:8], v[24:25], -v[20:21]
	s_delay_alu instid0(VALU_DEP_1) | instskip(SKIP_2) | instid1(VALU_DEP_1)
	v_add_f64 v[20:21], v[20:21], s[8:9]
	s_mov_b32 s8, 0x59c41d5a
	s_mov_b32 s9, 0xbf0e2b26
	v_fma_f64 v[24:25], v[7:8], v[20:21], -v[24:25]
	s_delay_alu instid0(VALU_DEP_1) | instskip(SKIP_2) | instid1(VALU_DEP_1)
	v_add_f64 v[24:25], v[24:25], s[8:9]
	s_mov_b32 s8, 0x74107cab
	s_mov_b32 s9, 0x3f28b51b
	v_fma_f64 v[20:21], v[7:8], v[24:25], -v[20:21]
	s_delay_alu instid0(VALU_DEP_1) | instskip(SKIP_2) | instid1(VALU_DEP_1)
	v_add_f64 v[20:21], v[20:21], s[8:9]
	s_mov_b32 s8, 0x1f15eb52
	s_mov_b32 s9, 0xbf42e2fd
	v_fma_f64 v[24:25], v[7:8], v[20:21], -v[24:25]
	s_delay_alu instid0(VALU_DEP_1) | instskip(SKIP_2) | instid1(VALU_DEP_1)
	v_add_f64 v[24:25], v[24:25], s[8:9]
	s_mov_b32 s8, 0x8a12100e
	s_mov_b32 s9, 0x3f5adc75
	v_fma_f64 v[20:21], v[7:8], v[24:25], -v[20:21]
	s_delay_alu instid0(VALU_DEP_1) | instskip(SKIP_2) | instid1(VALU_DEP_1)
	v_add_f64 v[20:21], v[20:21], s[8:9]
	s_mov_b32 s8, 0x201aa849
	s_mov_b32 s9, 0xbf71b65e
	v_fma_f64 v[24:25], v[7:8], v[20:21], -v[24:25]
	s_delay_alu instid0(VALU_DEP_1) | instskip(SKIP_2) | instid1(SALU_CYCLE_1)
	v_add_f64 v[24:25], v[24:25], s[8:9]
	s_mov_b32 s8, 0x652b82fe
	s_mov_b32 s9, 0x3ff71547
	v_mul_f64 v[26:27], v[18:19], s[8:9]
	s_mov_b32 s8, 0xf3dde3dd
	s_mov_b32 s9, 0x3f859961
	s_delay_alu instid0(VALU_DEP_2) | instskip(NEXT) | instid1(VALU_DEP_2)
	v_fma_f64 v[20:21], v[7:8], v[24:25], -v[20:21]
	v_rndne_f64_e32 v[26:27], v[26:27]
	s_delay_alu instid0(VALU_DEP_2)
	v_add_f64 v[20:21], v[20:21], s[8:9]
	s_mov_b32 s8, 0xfefa39ef
	s_mov_b32 s9, 0xbfe62e42
	s_delay_alu instid0(VALU_DEP_2) | instid1(SALU_CYCLE_1)
	v_fma_f64 v[28:29], v[26:27], s[8:9], v[18:19]
	s_mov_b32 s8, 0x3b39803f
	s_mov_b32 s9, 0xbc7abc9e
	s_delay_alu instid0(VALU_DEP_2) | instskip(NEXT) | instid1(VALU_DEP_2)
	v_fma_f64 v[24:25], v[7:8], v[20:21], -v[24:25]
	v_fma_f64 v[28:29], v[26:27], s[8:9], v[28:29]
	s_mov_b32 s8, 0xf121b6f0
	s_mov_b32 s9, 0xbf984e9e
	v_cvt_i32_f64_e32 v26, v[26:27]
	s_delay_alu instid0(VALU_DEP_3)
	v_add_f64 v[24:25], v[24:25], s[8:9]
	s_mov_b32 s8, 0xfca7ab0c
	s_mov_b32 s9, 0x3e928af3
	s_delay_alu instid0(VALU_DEP_3) | instid1(SALU_CYCLE_1)
	v_fma_f64 v[30:31], v[28:29], s[10:11], s[8:9]
	s_mov_b32 s8, 0x623fde64
	s_mov_b32 s9, 0x3ec71dee
	s_delay_alu instid0(VALU_DEP_2) | instskip(NEXT) | instid1(VALU_DEP_2)
	v_fma_f64 v[20:21], v[7:8], v[24:25], -v[20:21]
	v_fma_f64 v[30:31], v[28:29], v[30:31], s[8:9]
	s_mov_b32 s8, 0xcea8a32d
	s_mov_b32 s9, 0x3fa93e8a
	s_delay_alu instid0(VALU_DEP_2) | instid1(SALU_CYCLE_1)
	v_add_f64 v[20:21], v[20:21], s[8:9]
	s_mov_b32 s8, 0x7c89e6b0
	s_mov_b32 s9, 0x3efa0199
	s_delay_alu instid0(VALU_DEP_2) | instid1(SALU_CYCLE_1)
	v_fma_f64 v[30:31], v[28:29], v[30:31], s[8:9]
	s_mov_b32 s8, 0x14761f6e
	s_mov_b32 s9, 0x3f2a01a0
	s_delay_alu instid0(VALU_DEP_2) | instskip(NEXT) | instid1(VALU_DEP_2)
	v_fma_f64 v[24:25], v[7:8], v[20:21], -v[24:25]
	v_fma_f64 v[30:31], v[28:29], v[30:31], s[8:9]
	s_mov_b32 s8, 0x342d06ea
	s_mov_b32 s9, 0xbfb84b70
	s_delay_alu instid0(VALU_DEP_2) | instid1(SALU_CYCLE_1)
	v_add_f64 v[24:25], v[24:25], s[8:9]
	s_mov_b32 s8, 0x1852b7b0
	s_mov_b32 s9, 0x3f56c16c
	s_delay_alu instid0(VALU_DEP_2) | instid1(SALU_CYCLE_1)
	;; [unrolled: 13-line block ×4, first 2 shown]
	v_fma_f64 v[30:31], v[28:29], v[30:31], s[8:9]
	s_mov_b32 s8, 0x9035a22a
	s_mov_b32 s9, 0x3fe5a84e
	s_delay_alu instid0(VALU_DEP_2) | instskip(NEXT) | instid1(VALU_DEP_2)
	v_fma_f64 v[7:8], v[7:8], v[24:25], -v[20:21]
	v_fma_f64 v[24:25], v[28:29], v[30:31], 1.0
	s_delay_alu instid0(VALU_DEP_2) | instskip(NEXT) | instid1(VALU_DEP_2)
	v_add_f64 v[7:8], v[7:8], s[8:9]
	v_fma_f64 v[24:25], v[28:29], v[24:25], 1.0
	s_delay_alu instid0(VALU_DEP_2) | instskip(NEXT) | instid1(VALU_DEP_2)
	v_add_f64 v[7:8], v[7:8], -v[20:21]
	v_ldexp_f64 v[20:21], v[24:25], v26
	s_delay_alu instid0(VALU_DEP_2) | instskip(NEXT) | instid1(VALU_DEP_2)
	v_mul_f64 v[7:8], v[7:8], 0.5
	v_cndmask_b32_e32 v21, 0x7ff00000, v21, vcc_lo
	s_delay_alu instid0(VALU_DEP_3) | instskip(NEXT) | instid1(VALU_DEP_1)
	v_cndmask_b32_e32 v20, 0, v20, vcc_lo
	v_mul_f64 v[7:8], v[20:21], v[7:8]
.LBB0_28:
	s_and_not1_saveexec_b32 s7, s1
	s_cbranch_execz .LBB0_30
; %bb.29:
	v_div_scale_f64 v[7:8], null, v[18:19], v[18:19], 0x40400000
	v_div_scale_f64 v[26:27], vcc_lo, 0x40400000, v[18:19], 0x40400000
	s_mov_b32 s8, 0x66119130
	s_mov_b32 s9, 0xbc5646da
	;; [unrolled: 1-line block ×4, first 2 shown]
	v_cmp_nlt_f64_e64 s1, 0x40900000, v[18:19]
	s_delay_alu instid0(VALU_DEP_3) | instskip(SKIP_2) | instid1(VALU_DEP_1)
	v_rcp_f64_e32 v[20:21], v[7:8]
	s_waitcnt_depctr 0xfff
	v_fma_f64 v[24:25], -v[7:8], v[20:21], 1.0
	v_fma_f64 v[20:21], v[20:21], v[24:25], v[20:21]
	s_delay_alu instid0(VALU_DEP_1) | instskip(NEXT) | instid1(VALU_DEP_1)
	v_fma_f64 v[24:25], -v[7:8], v[20:21], 1.0
	v_fma_f64 v[20:21], v[20:21], v[24:25], v[20:21]
	s_delay_alu instid0(VALU_DEP_1) | instskip(NEXT) | instid1(VALU_DEP_1)
	v_mul_f64 v[24:25], v[26:27], v[20:21]
	v_fma_f64 v[7:8], -v[7:8], v[24:25], v[26:27]
	s_delay_alu instid0(VALU_DEP_1) | instskip(SKIP_1) | instid1(VALU_DEP_2)
	v_div_fmas_f64 v[7:8], v[7:8], v[20:21], v[24:25]
	v_cmp_gt_f64_e32 vcc_lo, 0x10000000, v[18:19]
	v_div_fixup_f64 v[7:8], v[7:8], v[18:19], 0x40400000
	v_cndmask_b32_e64 v32, 0, 1, vcc_lo
	s_delay_alu instid0(VALU_DEP_1) | instskip(NEXT) | instid1(VALU_DEP_1)
	v_lshlrev_b32_e32 v32, 8, v32
	v_ldexp_f64 v[32:33], v[18:19], v32
	s_delay_alu instid0(VALU_DEP_4) | instskip(NEXT) | instid1(VALU_DEP_2)
	v_add_f64 v[7:8], v[7:8], -2.0
	v_rsq_f64_e32 v[34:35], v[32:33]
	s_delay_alu instid0(VALU_DEP_1)
	v_fma_f64 v[20:21], v[7:8], s[10:11], s[8:9]
	s_mov_b32 s11, 0x3c60adb7
	s_mov_b32 s8, 0x12d98421
	s_mov_b32 s9, 0x3c89be18
	s_waitcnt_depctr 0xfff
	v_mul_f64 v[36:37], v[32:33], v[34:35]
	v_mul_f64 v[34:35], v[34:35], 0.5
	v_fma_f64 v[24:25], v[7:8], v[20:21], s[10:11]
	s_mov_b32 s10, 0x6a5dcb37
	s_mov_b32 s11, 0x3e5ade15
	s_delay_alu instid0(VALU_DEP_2) | instskip(NEXT) | instid1(VALU_DEP_2)
	v_fma_f64 v[38:39], -v[34:35], v[36:37], 0.5
	v_add_f64 v[24:25], v[24:25], s[8:9]
	s_mov_b32 s8, 0x76041cd
	s_mov_b32 s9, 0x3c83f3dd
	s_delay_alu instid0(VALU_DEP_2) | instskip(SKIP_1) | instid1(VALU_DEP_3)
	v_fma_f64 v[36:37], v[36:37], v[38:39], v[36:37]
	v_fma_f64 v[34:35], v[34:35], v[38:39], v[34:35]
	v_fma_f64 v[20:21], v[7:8], v[24:25], -v[20:21]
	s_delay_alu instid0(VALU_DEP_3) | instskip(NEXT) | instid1(VALU_DEP_2)
	v_fma_f64 v[38:39], -v[36:37], v[36:37], v[32:33]
	v_add_f64 v[20:21], v[20:21], s[8:9]
	s_mov_b32 s8, 0xabd21fe4
	s_mov_b32 s9, 0xbcb4600b
	s_delay_alu instid0(VALU_DEP_1) | instskip(NEXT) | instid1(VALU_DEP_1)
	v_fma_f64 v[24:25], v[7:8], v[20:21], -v[24:25]
	v_add_f64 v[24:25], v[24:25], s[8:9]
	s_mov_b32 s8, 0xd908de38
	s_mov_b32 s9, 0xbcb8aee7
	s_delay_alu instid0(VALU_DEP_1) | instskip(NEXT) | instid1(VALU_DEP_1)
	v_fma_f64 v[20:21], v[7:8], v[24:25], -v[20:21]
	;; [unrolled: 5-line block ×14, first 2 shown]
	v_add_f64 v[20:21], v[20:21], s[8:9]
	s_mov_b32 s8, 0x652b82fe
	s_mov_b32 s9, 0x3ff71547
	s_delay_alu instid0(SALU_CYCLE_1) | instskip(SKIP_2) | instid1(VALU_DEP_2)
	v_mul_f64 v[26:27], v[18:19], s[8:9]
	s_mov_b32 s8, 0xa9225b87
	s_mov_b32 s9, 0x3e2d2c64
	v_fma_f64 v[24:25], v[7:8], v[20:21], -v[24:25]
	s_delay_alu instid0(VALU_DEP_2) | instskip(NEXT) | instid1(VALU_DEP_2)
	v_rndne_f64_e32 v[26:27], v[26:27]
	v_add_f64 v[24:25], v[24:25], s[8:9]
	s_mov_b32 s8, 0xfefa39ef
	s_mov_b32 s9, 0xbfe62e42
	s_delay_alu instid0(VALU_DEP_2) | instid1(SALU_CYCLE_1)
	v_fma_f64 v[28:29], v[26:27], s[8:9], v[18:19]
	s_mov_b32 s8, 0x3b39803f
	s_mov_b32 s9, 0xbc7abc9e
	s_delay_alu instid0(VALU_DEP_2) | instskip(NEXT) | instid1(VALU_DEP_2)
	v_fma_f64 v[20:21], v[7:8], v[24:25], -v[20:21]
	v_fma_f64 v[28:29], v[26:27], s[8:9], v[28:29]
	s_mov_b32 s8, 0x80d6d56d
	s_mov_b32 s9, 0x3e585692
	s_delay_alu instid0(VALU_DEP_2) | instid1(SALU_CYCLE_1)
	v_add_f64 v[20:21], v[20:21], s[8:9]
	s_mov_b32 s8, 0xfca7ab0c
	s_mov_b32 s9, 0x3e928af3
	s_delay_alu instid0(VALU_DEP_2) | instid1(SALU_CYCLE_1)
	v_fma_f64 v[30:31], v[28:29], s[10:11], s[8:9]
	s_mov_b32 s8, 0x623fde64
	s_mov_b32 s9, 0x3ec71dee
	s_delay_alu instid0(VALU_DEP_2) | instskip(NEXT) | instid1(VALU_DEP_2)
	v_fma_f64 v[24:25], v[7:8], v[20:21], -v[24:25]
	v_fma_f64 v[30:31], v[28:29], v[30:31], s[8:9]
	s_mov_b32 s8, 0xd9cd616e
	s_mov_b32 s9, 0x3e8b8007
	s_delay_alu instid0(VALU_DEP_2) | instid1(SALU_CYCLE_1)
	;; [unrolled: 13-line block ×5, first 2 shown]
	v_add_f64 v[20:21], v[20:21], s[8:9]
	s_mov_b32 s8, 11
	s_mov_b32 s9, 0x3fe00000
	s_delay_alu instid0(VALU_DEP_2) | instid1(SALU_CYCLE_1)
	v_fma_f64 v[30:31], v[28:29], v[30:31], s[8:9]
	s_mov_b32 s8, 0xaca809cb
	s_mov_b32 s9, 0x3fe9be62
	s_delay_alu instid0(VALU_DEP_2) | instskip(SKIP_2) | instid1(VALU_DEP_4)
	v_fma_f64 v[7:8], v[7:8], v[20:21], -v[24:25]
	v_fma_f64 v[20:21], v[38:39], v[34:35], v[36:37]
	v_cvt_i32_f64_e32 v36, v[26:27]
	v_fma_f64 v[30:31], v[28:29], v[30:31], 1.0
	s_delay_alu instid0(VALU_DEP_4) | instskip(NEXT) | instid1(VALU_DEP_4)
	v_add_f64 v[7:8], v[7:8], s[8:9]
	v_fma_f64 v[26:27], -v[20:21], v[20:21], v[32:33]
	s_delay_alu instid0(VALU_DEP_3) | instskip(NEXT) | instid1(VALU_DEP_3)
	v_fma_f64 v[28:29], v[28:29], v[30:31], 1.0
	v_add_f64 v[7:8], v[7:8], -v[24:25]
	s_delay_alu instid0(VALU_DEP_3) | instskip(SKIP_4) | instid1(VALU_DEP_4)
	v_fma_f64 v[20:21], v[26:27], v[34:35], v[20:21]
	v_cndmask_b32_e64 v26, 0, 0xffffff80, vcc_lo
	v_cmp_class_f64_e64 vcc_lo, v[32:33], 0x260
	v_ldexp_f64 v[24:25], v[28:29], v36
	v_mul_f64 v[7:8], v[7:8], 0.5
	v_ldexp_f64 v[20:21], v[20:21], v26
	s_delay_alu instid0(VALU_DEP_3) | instskip(NEXT) | instid1(VALU_DEP_4)
	v_cndmask_b32_e64 v25, 0x7ff00000, v25, s1
	v_cndmask_b32_e64 v24, 0, v24, s1
	s_delay_alu instid0(VALU_DEP_1) | instskip(NEXT) | instid1(VALU_DEP_4)
	v_mul_f64 v[7:8], v[24:25], v[7:8]
	v_dual_cndmask_b32 v21, v21, v33 :: v_dual_cndmask_b32 v20, v20, v32
	s_delay_alu instid0(VALU_DEP_1) | instskip(NEXT) | instid1(VALU_DEP_1)
	v_div_scale_f64 v[24:25], null, v[20:21], v[20:21], v[7:8]
	v_rcp_f64_e32 v[26:27], v[24:25]
	s_waitcnt_depctr 0xfff
	v_fma_f64 v[28:29], -v[24:25], v[26:27], 1.0
	s_delay_alu instid0(VALU_DEP_1) | instskip(NEXT) | instid1(VALU_DEP_1)
	v_fma_f64 v[26:27], v[26:27], v[28:29], v[26:27]
	v_fma_f64 v[28:29], -v[24:25], v[26:27], 1.0
	s_delay_alu instid0(VALU_DEP_1) | instskip(SKIP_1) | instid1(VALU_DEP_1)
	v_fma_f64 v[26:27], v[26:27], v[28:29], v[26:27]
	v_div_scale_f64 v[28:29], vcc_lo, v[7:8], v[20:21], v[7:8]
	v_mul_f64 v[30:31], v[28:29], v[26:27]
	s_delay_alu instid0(VALU_DEP_1) | instskip(NEXT) | instid1(VALU_DEP_1)
	v_fma_f64 v[24:25], -v[24:25], v[30:31], v[28:29]
	v_div_fmas_f64 v[24:25], v[24:25], v[26:27], v[30:31]
	s_delay_alu instid0(VALU_DEP_1)
	v_div_fixup_f64 v[7:8], v[24:25], v[20:21], v[7:8]
.LBB0_30:
	s_or_b32 exec_lo, exec_lo, s7
	s_delay_alu instid0(VALU_DEP_2)
	v_frexp_mant_f64_e32 v[20:21], v[2:3]
	s_mov_b32 s9, 0x3fe55555
	s_mov_b32 s8, 0x55555555
	v_mov_b32_e32 v24, 0
	s_mov_b32 s10, 0x6b47b09a
	s_mov_b32 s12, 0xbf559e2b
	;; [unrolled: 1-line block ×4, first 2 shown]
	v_fma_f64 v[18:19], v[18:19], v[18:19], -2.0
	s_delay_alu instid0(VALU_DEP_3) | instskip(SKIP_2) | instid1(VALU_DEP_1)
	v_cmp_gt_f64_e32 vcc_lo, s[8:9], v[20:21]
	s_mov_b32 s8, 0x55555780
	v_cndmask_b32_e64 v25, 0x3ff00000, 2.0, vcc_lo
	v_mul_f64 v[20:21], v[20:21], v[24:25]
	s_delay_alu instid0(VALU_DEP_1) | instskip(SKIP_1) | instid1(VALU_DEP_2)
	v_add_f64 v[24:25], v[20:21], 1.0
	v_add_f64 v[30:31], v[20:21], -1.0
	v_rcp_f64_e32 v[26:27], v[24:25]
	v_add_f64 v[32:33], v[24:25], -1.0
	s_delay_alu instid0(VALU_DEP_1) | instskip(SKIP_2) | instid1(VALU_DEP_1)
	v_add_f64 v[20:21], v[20:21], -v[32:33]
	s_waitcnt_depctr 0xfff
	v_fma_f64 v[28:29], -v[24:25], v[26:27], 1.0
	v_fma_f64 v[26:27], v[28:29], v[26:27], v[26:27]
	s_delay_alu instid0(VALU_DEP_1) | instskip(NEXT) | instid1(VALU_DEP_1)
	v_fma_f64 v[28:29], -v[24:25], v[26:27], 1.0
	v_fma_f64 v[26:27], v[28:29], v[26:27], v[26:27]
	s_delay_alu instid0(VALU_DEP_1) | instskip(NEXT) | instid1(VALU_DEP_1)
	v_mul_f64 v[28:29], v[30:31], v[26:27]
	v_mul_f64 v[34:35], v[24:25], v[28:29]
	s_delay_alu instid0(VALU_DEP_1) | instskip(NEXT) | instid1(VALU_DEP_1)
	v_fma_f64 v[24:25], v[28:29], v[24:25], -v[34:35]
	v_fma_f64 v[20:21], v[28:29], v[20:21], v[24:25]
	s_delay_alu instid0(VALU_DEP_1) | instskip(NEXT) | instid1(VALU_DEP_1)
	v_add_f64 v[24:25], v[34:35], v[20:21]
	v_add_f64 v[32:33], v[30:31], -v[24:25]
	v_add_f64 v[34:35], v[24:25], -v[34:35]
	s_delay_alu instid0(VALU_DEP_2) | instskip(NEXT) | instid1(VALU_DEP_2)
	v_add_f64 v[30:31], v[30:31], -v[32:33]
	v_add_f64 v[20:21], v[34:35], -v[20:21]
	v_frexp_exp_i32_f64_e32 v34, v[2:3]
	s_delay_alu instid0(VALU_DEP_3) | instskip(NEXT) | instid1(VALU_DEP_1)
	v_add_f64 v[24:25], v[30:31], -v[24:25]
	v_add_f64 v[20:21], v[20:21], v[24:25]
	s_delay_alu instid0(VALU_DEP_1) | instskip(NEXT) | instid1(VALU_DEP_1)
	v_add_f64 v[20:21], v[32:33], v[20:21]
	v_mul_f64 v[20:21], v[26:27], v[20:21]
	s_delay_alu instid0(VALU_DEP_1) | instskip(NEXT) | instid1(VALU_DEP_1)
	v_add_f64 v[24:25], v[28:29], v[20:21]
	v_mul_f64 v[26:27], v[24:25], v[24:25]
	s_delay_alu instid0(VALU_DEP_1) | instskip(SKIP_3) | instid1(VALU_DEP_2)
	v_fma_f64 v[30:31], v[26:27], s[12:13], s[10:11]
	s_mov_b32 s10, 0xd7f4df2e
	s_mov_b32 s11, 0x3fc7474d
	v_mul_f64 v[32:33], v[24:25], v[26:27]
	v_fma_f64 v[30:31], v[26:27], v[30:31], s[10:11]
	s_mov_b32 s10, 0x16291751
	s_mov_b32 s11, 0x3fcc71c0
	s_delay_alu instid0(VALU_DEP_1) | instid1(SALU_CYCLE_1)
	v_fma_f64 v[30:31], v[26:27], v[30:31], s[10:11]
	s_mov_b32 s10, 0x9b27acf1
	s_mov_b32 s11, 0x3fd24924
	s_delay_alu instid0(VALU_DEP_1) | instid1(SALU_CYCLE_1)
	;; [unrolled: 4-line block ×3, first 2 shown]
	v_fma_f64 v[30:31], v[26:27], v[30:31], s[10:11]
	s_mov_b32 s11, 0x3ca3cee1
	s_mov_b32 s10, 0xe6a7fd77
	s_delay_alu instid0(VALU_DEP_1) | instskip(SKIP_4) | instid1(VALU_DEP_3)
	v_fma_f64 v[26:27], v[26:27], v[30:31], s[8:9]
	v_ldexp_f64 v[30:31], v[24:25], 1
	v_add_f64 v[24:25], v[24:25], -v[28:29]
	s_mov_b32 s8, 0xc384c2aa
	s_mov_b32 s9, 0x3d27fb0a
	v_mul_f64 v[26:27], v[32:33], v[26:27]
	v_subrev_co_ci_u32_e32 v32, vcc_lo, 0, v34, vcc_lo
	v_fma_f64 v[34:35], v[18:19], s[10:11], s[8:9]
	s_mov_b32 s8, 0xfefa39ef
	s_mov_b32 s9, 0x3fe62e42
	s_delay_alu instid0(VALU_DEP_2) | instskip(SKIP_4) | instid1(VALU_DEP_4)
	v_cvt_f64_i32_e32 v[32:33], v32
	v_add_f64 v[20:21], v[20:21], -v[24:25]
	s_mov_b32 s11, 0xbca3cee1
	v_cmp_eq_f64_e32 vcc_lo, 0x7ff00000, v[2:3]
	v_add_f64 v[28:29], v[30:31], v[26:27]
	v_mul_f64 v[36:37], v[32:33], s[8:9]
	s_delay_alu instid0(VALU_DEP_4) | instskip(NEXT) | instid1(VALU_DEP_3)
	v_ldexp_f64 v[20:21], v[20:21], 1
	v_add_f64 v[24:25], v[28:29], -v[30:31]
	v_fma_f64 v[30:31], v[18:19], v[34:35], s[10:11]
	s_delay_alu instid0(VALU_DEP_4) | instskip(SKIP_2) | instid1(VALU_DEP_3)
	v_fma_f64 v[38:39], v[32:33], s[8:9], -v[36:37]
	s_mov_b32 s8, 0x47512144
	s_mov_b32 s9, 0x3da6c25c
	v_add_f64 v[24:25], v[26:27], -v[24:25]
	s_delay_alu instid0(VALU_DEP_3)
	v_add_f64 v[26:27], v[30:31], s[8:9]
	s_mov_b32 s8, 0x3b39803f
	s_mov_b32 s9, 0x3c7abc9e
	s_delay_alu instid0(VALU_DEP_3) | instid1(SALU_CYCLE_1)
	v_fma_f64 v[30:31], v[32:33], s[8:9], v[38:39]
	s_mov_b32 s8, 0x67e58a13
	s_mov_b32 s9, 0x3e205c13
	s_delay_alu instid0(VALU_DEP_3) | instskip(NEXT) | instid1(VALU_DEP_3)
	v_add_f64 v[20:21], v[20:21], v[24:25]
	v_fma_f64 v[24:25], v[18:19], v[26:27], -v[34:35]
	s_delay_alu instid0(VALU_DEP_3) | instskip(NEXT) | instid1(VALU_DEP_3)
	v_add_f64 v[32:33], v[36:37], v[30:31]
	v_add_f64 v[34:35], v[28:29], v[20:21]
	s_delay_alu instid0(VALU_DEP_3) | instskip(SKIP_2) | instid1(VALU_DEP_3)
	v_add_f64 v[24:25], v[24:25], s[8:9]
	s_mov_b32 s8, 0xe7f95efc
	s_mov_b32 s9, 0x3e9102bc
	v_add_f64 v[36:37], v[32:33], -v[36:37]
	s_delay_alu instid0(VALU_DEP_3) | instskip(NEXT) | instid1(VALU_DEP_3)
	v_add_f64 v[38:39], v[32:33], v[34:35]
	v_fma_f64 v[26:27], v[18:19], v[24:25], -v[26:27]
	v_add_f64 v[28:29], v[34:35], -v[28:29]
	s_delay_alu instid0(VALU_DEP_4) | instskip(NEXT) | instid1(VALU_DEP_4)
	v_add_f64 v[30:31], v[30:31], -v[36:37]
	v_add_f64 v[48:49], v[38:39], -v[32:33]
	s_delay_alu instid0(VALU_DEP_4) | instskip(NEXT) | instid1(VALU_DEP_4)
	v_add_f64 v[26:27], v[26:27], s[8:9]
	v_add_f64 v[20:21], v[20:21], -v[28:29]
	s_mov_b32 s8, 0xfe8cfca0
	s_mov_b32 s9, 0x3ef7f900
	s_delay_alu instid0(VALU_DEP_3) | instskip(NEXT) | instid1(VALU_DEP_3)
	v_add_f64 v[50:51], v[38:39], -v[48:49]
	v_fma_f64 v[24:25], v[18:19], v[26:27], -v[24:25]
	v_add_f64 v[28:29], v[34:35], -v[48:49]
	s_delay_alu instid0(VALU_DEP_4) | instskip(NEXT) | instid1(VALU_DEP_4)
	v_add_f64 v[34:35], v[30:31], v[20:21]
	v_add_f64 v[32:33], v[32:33], -v[50:51]
	s_delay_alu instid0(VALU_DEP_4) | instskip(SKIP_2) | instid1(VALU_DEP_2)
	v_add_f64 v[24:25], v[24:25], s[8:9]
	s_mov_b32 s8, 0x75633d73
	s_mov_b32 s9, 0x3f54b82e
	v_add_f64 v[28:29], v[28:29], v[32:33]
	s_delay_alu instid0(VALU_DEP_2) | instskip(SKIP_1) | instid1(VALU_DEP_3)
	v_fma_f64 v[26:27], v[18:19], v[24:25], -v[26:27]
	v_add_f64 v[32:33], v[34:35], -v[30:31]
	v_add_f64 v[28:29], v[34:35], v[28:29]
	s_delay_alu instid0(VALU_DEP_3) | instskip(NEXT) | instid1(VALU_DEP_3)
	v_add_f64 v[26:27], v[26:27], s[8:9]
	v_add_f64 v[34:35], v[34:35], -v[32:33]
	v_add_f64 v[20:21], v[20:21], -v[32:33]
	s_mov_b32 s8, 0x554a9085
	s_mov_b32 s9, 0x3fa26bf6
	s_delay_alu instid0(VALU_DEP_4) | instskip(NEXT) | instid1(VALU_DEP_4)
	v_add_f64 v[36:37], v[38:39], v[28:29]
	v_fma_f64 v[24:25], v[18:19], v[26:27], -v[24:25]
	s_delay_alu instid0(VALU_DEP_4) | instskip(NEXT) | instid1(VALU_DEP_3)
	v_add_f64 v[30:31], v[30:31], -v[34:35]
	v_add_f64 v[32:33], v[36:37], -v[38:39]
	s_delay_alu instid0(VALU_DEP_3) | instskip(NEXT) | instid1(VALU_DEP_3)
	v_add_f64 v[24:25], v[24:25], s[8:9]
	v_add_f64 v[20:21], v[20:21], v[30:31]
	s_mov_b32 s8, 0x81213db9
	s_mov_b32 s9, 0x3fd608d8
	s_delay_alu instid0(VALU_DEP_3) | instskip(NEXT) | instid1(VALU_DEP_3)
	v_add_f64 v[28:29], v[28:29], -v[32:33]
	v_fma_f64 v[26:27], v[18:19], v[24:25], -v[26:27]
	s_delay_alu instid0(VALU_DEP_2) | instskip(NEXT) | instid1(VALU_DEP_2)
	v_add_f64 v[20:21], v[20:21], v[28:29]
	v_add_f64 v[26:27], v[26:27], s[8:9]
	s_mov_b32 s8, 0xe9d2f61f
	s_mov_b32 s9, 0xbfe12166
	s_delay_alu instid0(VALU_DEP_2) | instskip(NEXT) | instid1(VALU_DEP_2)
	v_add_f64 v[20:21], v[36:37], v[20:21]
	v_fma_f64 v[18:19], v[18:19], v[26:27], -v[24:25]
	s_delay_alu instid0(VALU_DEP_2) | instskip(SKIP_1) | instid1(VALU_DEP_3)
	v_dual_cndmask_b32 v21, v21, v3 :: v_dual_cndmask_b32 v20, v20, v2
	v_cmp_neq_f64_e32 vcc_lo, 0, v[2:3]
	v_add_f64 v[2:3], v[18:19], s[8:9]
	s_delay_alu instid0(VALU_DEP_3) | instskip(NEXT) | instid1(VALU_DEP_4)
	v_cndmask_b32_e32 v19, 0xfff00000, v21, vcc_lo
	v_cndmask_b32_e32 v18, 0, v20, vcc_lo
	s_delay_alu instid0(VALU_DEP_3) | instskip(NEXT) | instid1(VALU_DEP_2)
	v_add_f64 v[2:3], v[2:3], -v[24:25]
	v_mul_f64 v[7:8], v[18:19], v[7:8]
                                        ; implicit-def: $vgpr18_vgpr19
	s_delay_alu instid0(VALU_DEP_1)
	v_fma_f64 v[7:8], v[2:3], 0.5, -v[7:8]
.LBB0_31:
	s_and_not1_saveexec_b32 s6, s6
	s_cbranch_execz .LBB0_33
; %bb.32:
	v_div_scale_f64 v[2:3], null, v[18:19], v[18:19], 0x40200000
	v_div_scale_f64 v[24:25], vcc_lo, 0x40200000, v[18:19], 0x40200000
	s_mov_b32 s8, 0x93812603
	s_mov_b32 s9, 0xbc72fecc
	;; [unrolled: 1-line block ×4, first 2 shown]
	v_cmp_nlt_f64_e64 s1, 0x4090cc00, v[18:19]
	s_delay_alu instid0(VALU_DEP_3) | instskip(SKIP_2) | instid1(VALU_DEP_1)
	v_rcp_f64_e32 v[7:8], v[2:3]
	s_waitcnt_depctr 0xfff
	v_fma_f64 v[20:21], -v[2:3], v[7:8], 1.0
	v_fma_f64 v[7:8], v[7:8], v[20:21], v[7:8]
	s_delay_alu instid0(VALU_DEP_1) | instskip(NEXT) | instid1(VALU_DEP_1)
	v_fma_f64 v[20:21], -v[2:3], v[7:8], 1.0
	v_fma_f64 v[7:8], v[7:8], v[20:21], v[7:8]
	s_delay_alu instid0(VALU_DEP_1) | instskip(NEXT) | instid1(VALU_DEP_1)
	v_mul_f64 v[20:21], v[24:25], v[7:8]
	v_fma_f64 v[2:3], -v[2:3], v[20:21], v[24:25]
	s_delay_alu instid0(VALU_DEP_1) | instskip(SKIP_1) | instid1(VALU_DEP_2)
	v_div_fmas_f64 v[2:3], v[2:3], v[7:8], v[20:21]
	v_cmp_gt_f64_e32 vcc_lo, 0x10000000, v[18:19]
	v_div_fixup_f64 v[2:3], v[2:3], v[18:19], 0x40200000
	v_cndmask_b32_e64 v30, 0, 1, vcc_lo
	s_delay_alu instid0(VALU_DEP_1) | instskip(NEXT) | instid1(VALU_DEP_1)
	v_lshlrev_b32_e32 v30, 8, v30
	v_ldexp_f64 v[30:31], v[18:19], v30
	s_delay_alu instid0(VALU_DEP_4) | instskip(NEXT) | instid1(VALU_DEP_2)
	v_add_f64 v[2:3], v[2:3], -2.0
	v_rsq_f64_e32 v[32:33], v[30:31]
	s_delay_alu instid0(VALU_DEP_1)
	v_fma_f64 v[7:8], v[2:3], s[10:11], s[8:9]
	s_mov_b32 s11, 0xbc5871a5
	s_mov_b32 s8, 0x41a8cdf4
	;; [unrolled: 1-line block ×3, first 2 shown]
	s_waitcnt_depctr 0xfff
	v_mul_f64 v[34:35], v[30:31], v[32:33]
	v_mul_f64 v[32:33], v[32:33], 0.5
	v_fma_f64 v[20:21], v[2:3], v[7:8], s[10:11]
	s_mov_b32 s10, 0x6a5dcb37
	s_mov_b32 s11, 0x3e5ade15
	s_delay_alu instid0(VALU_DEP_2) | instskip(NEXT) | instid1(VALU_DEP_2)
	v_fma_f64 v[36:37], -v[32:33], v[34:35], 0.5
	v_add_f64 v[20:21], v[20:21], s[8:9]
	s_mov_b32 s8, 0x74d77641
	s_mov_b32 s9, 0xbca82f94
	s_delay_alu instid0(VALU_DEP_2) | instskip(SKIP_1) | instid1(VALU_DEP_3)
	v_fma_f64 v[34:35], v[34:35], v[36:37], v[34:35]
	v_fma_f64 v[32:33], v[32:33], v[36:37], v[32:33]
	v_fma_f64 v[7:8], v[2:3], v[20:21], -v[7:8]
	s_delay_alu instid0(VALU_DEP_3) | instskip(NEXT) | instid1(VALU_DEP_2)
	v_fma_f64 v[36:37], -v[34:35], v[34:35], v[30:31]
	v_add_f64 v[7:8], v[7:8], s[8:9]
	s_mov_b32 s8, 0x6b94785b
	s_mov_b32 s9, 0x3cc3dbf9
	s_delay_alu instid0(VALU_DEP_1) | instskip(NEXT) | instid1(VALU_DEP_1)
	v_fma_f64 v[20:21], v[2:3], v[7:8], -v[20:21]
	v_add_f64 v[20:21], v[20:21], s[8:9]
	s_mov_b32 s8, 0xecfadd36
	s_mov_b32 s9, 0xbce0a690
	s_delay_alu instid0(VALU_DEP_1) | instskip(NEXT) | instid1(VALU_DEP_1)
	v_fma_f64 v[7:8], v[2:3], v[20:21], -v[7:8]
	;; [unrolled: 5-line block ×14, first 2 shown]
	v_add_f64 v[7:8], v[7:8], s[8:9]
	s_mov_b32 s8, 0x652b82fe
	s_mov_b32 s9, 0xbff71547
	s_delay_alu instid0(SALU_CYCLE_1) | instskip(SKIP_2) | instid1(VALU_DEP_2)
	v_mul_f64 v[24:25], v[18:19], s[8:9]
	s_mov_b32 s8, 0x81e3e46f
	s_mov_b32 s9, 0x3e929159
	v_fma_f64 v[20:21], v[2:3], v[7:8], -v[20:21]
	s_delay_alu instid0(VALU_DEP_2) | instskip(NEXT) | instid1(VALU_DEP_2)
	v_rndne_f64_e32 v[24:25], v[24:25]
	v_add_f64 v[20:21], v[20:21], s[8:9]
	s_mov_b32 s8, 0xfefa39ef
	s_mov_b32 s9, 0xbfe62e42
	s_delay_alu instid0(VALU_DEP_2) | instid1(SALU_CYCLE_1)
	v_fma_f64 v[26:27], v[24:25], s[8:9], -v[18:19]
	s_mov_b32 s8, 0x3b39803f
	s_mov_b32 s9, 0xbc7abc9e
	v_cndmask_b32_e64 v18, 0, 0xffffff80, vcc_lo
	v_cmp_class_f64_e64 vcc_lo, v[30:31], 0x260
	s_delay_alu instid0(VALU_DEP_4) | instskip(NEXT) | instid1(VALU_DEP_4)
	v_fma_f64 v[7:8], v[2:3], v[20:21], -v[7:8]
	v_fma_f64 v[26:27], v[24:25], s[8:9], v[26:27]
	s_mov_b32 s8, 0x7f18d3a9
	s_mov_b32 s9, 0xbebebb54
	s_delay_alu instid0(VALU_DEP_2) | instid1(SALU_CYCLE_1)
	v_add_f64 v[7:8], v[7:8], s[8:9]
	s_mov_b32 s8, 0xfca7ab0c
	s_mov_b32 s9, 0x3e928af3
	s_delay_alu instid0(VALU_DEP_2) | instid1(SALU_CYCLE_1)
	v_fma_f64 v[28:29], v[26:27], s[10:11], s[8:9]
	s_mov_b32 s8, 0x623fde64
	s_mov_b32 s9, 0x3ec71dee
	s_delay_alu instid0(VALU_DEP_2) | instskip(NEXT) | instid1(VALU_DEP_2)
	v_fma_f64 v[20:21], v[2:3], v[7:8], -v[20:21]
	v_fma_f64 v[28:29], v[26:27], v[28:29], s[8:9]
	s_mov_b32 s8, 0xcc7470a9
	s_mov_b32 s9, 0x3eed413f
	s_delay_alu instid0(VALU_DEP_2) | instid1(SALU_CYCLE_1)
	v_add_f64 v[20:21], v[20:21], s[8:9]
	s_mov_b32 s8, 0x7c89e6b0
	s_mov_b32 s9, 0x3efa0199
	s_delay_alu instid0(VALU_DEP_2) | instid1(SALU_CYCLE_1)
	v_fma_f64 v[28:29], v[26:27], v[28:29], s[8:9]
	s_mov_b32 s8, 0x14761f6e
	s_mov_b32 s9, 0x3f2a01a0
	s_delay_alu instid0(VALU_DEP_2) | instskip(NEXT) | instid1(VALU_DEP_2)
	;; [unrolled: 13-line block ×4, first 2 shown]
	v_fma_f64 v[7:8], v[2:3], v[20:21], -v[7:8]
	v_fma_f64 v[28:29], v[26:27], v[28:29], s[8:9]
	s_mov_b32 s8, 0x2d4ff71e
	s_mov_b32 s9, 0xbfa019f7
	s_delay_alu instid0(VALU_DEP_2) | instid1(SALU_CYCLE_1)
	v_add_f64 v[7:8], v[7:8], s[8:9]
	s_mov_b32 s8, 11
	s_mov_b32 s9, 0x3fe00000
	s_delay_alu instid0(VALU_DEP_2) | instid1(SALU_CYCLE_1)
	v_fma_f64 v[28:29], v[26:27], v[28:29], s[8:9]
	s_mov_b32 s8, 0x9f4e6907
	s_mov_b32 s9, 0x400385bd
	s_delay_alu instid0(VALU_DEP_2) | instskip(SKIP_2) | instid1(VALU_DEP_4)
	v_fma_f64 v[2:3], v[2:3], v[7:8], -v[20:21]
	v_fma_f64 v[7:8], v[36:37], v[32:33], v[34:35]
	v_cvt_i32_f64_e32 v34, v[24:25]
	v_fma_f64 v[28:29], v[26:27], v[28:29], 1.0
	s_delay_alu instid0(VALU_DEP_4) | instskip(NEXT) | instid1(VALU_DEP_4)
	v_add_f64 v[2:3], v[2:3], s[8:9]
	v_fma_f64 v[24:25], -v[7:8], v[7:8], v[30:31]
	s_delay_alu instid0(VALU_DEP_3) | instskip(NEXT) | instid1(VALU_DEP_3)
	v_fma_f64 v[26:27], v[26:27], v[28:29], 1.0
	v_add_f64 v[2:3], v[2:3], -v[20:21]
	s_delay_alu instid0(VALU_DEP_3) | instskip(NEXT) | instid1(VALU_DEP_3)
	v_fma_f64 v[7:8], v[24:25], v[32:33], v[7:8]
	v_ldexp_f64 v[20:21], v[26:27], v34
	s_delay_alu instid0(VALU_DEP_3) | instskip(NEXT) | instid1(VALU_DEP_3)
	v_mul_f64 v[2:3], v[2:3], 0.5
	v_ldexp_f64 v[7:8], v[7:8], v18
	s_delay_alu instid0(VALU_DEP_3) | instskip(NEXT) | instid1(VALU_DEP_4)
	v_cndmask_b32_e64 v19, 0, v21, s1
	v_cndmask_b32_e64 v18, 0, v20, s1
	s_delay_alu instid0(VALU_DEP_1) | instskip(NEXT) | instid1(VALU_DEP_4)
	v_mul_f64 v[2:3], v[18:19], v[2:3]
	v_dual_cndmask_b32 v8, v8, v31 :: v_dual_cndmask_b32 v7, v7, v30
	s_delay_alu instid0(VALU_DEP_1) | instskip(NEXT) | instid1(VALU_DEP_1)
	v_div_scale_f64 v[18:19], null, v[7:8], v[7:8], v[2:3]
	v_rcp_f64_e32 v[20:21], v[18:19]
	s_waitcnt_depctr 0xfff
	v_fma_f64 v[24:25], -v[18:19], v[20:21], 1.0
	s_delay_alu instid0(VALU_DEP_1) | instskip(NEXT) | instid1(VALU_DEP_1)
	v_fma_f64 v[20:21], v[20:21], v[24:25], v[20:21]
	v_fma_f64 v[24:25], -v[18:19], v[20:21], 1.0
	s_delay_alu instid0(VALU_DEP_1) | instskip(SKIP_1) | instid1(VALU_DEP_1)
	v_fma_f64 v[20:21], v[20:21], v[24:25], v[20:21]
	v_div_scale_f64 v[24:25], vcc_lo, v[2:3], v[7:8], v[2:3]
	v_mul_f64 v[26:27], v[24:25], v[20:21]
	s_delay_alu instid0(VALU_DEP_1) | instskip(NEXT) | instid1(VALU_DEP_1)
	v_fma_f64 v[18:19], -v[18:19], v[26:27], v[24:25]
	v_div_fmas_f64 v[18:19], v[18:19], v[20:21], v[26:27]
	s_delay_alu instid0(VALU_DEP_1)
	v_div_fixup_f64 v[7:8], v[18:19], v[7:8], v[2:3]
.LBB0_33:
	s_or_b32 exec_lo, exec_lo, s6
.LBB0_34:
	s_delay_alu instid0(SALU_CYCLE_1)
	s_or_b32 exec_lo, exec_lo, s5
.LBB0_35:
	s_delay_alu instid0(SALU_CYCLE_1)
	s_or_b32 exec_lo, exec_lo, s4
.LBB0_36:
	s_delay_alu instid0(SALU_CYCLE_1) | instskip(SKIP_2) | instid1(VALU_DEP_1)
	s_or_b32 exec_lo, exec_lo, s3
	v_add_nc_u32_e32 v2, 0x200, v22
	s_mov_b32 s3, exec_lo
	v_cmpx_lt_i32_e64 v2, v4
	s_cbranch_execz .LBB0_50
; %bb.37:
	v_mov_b32_e32 v9, 0
	v_mov_b32_e32 v10, 0x7ff00000
	s_mov_b32 s4, exec_lo
	s_waitcnt vmcnt(0) lgkmcnt(0)
	v_cmpx_neq_f64_e32 0, v[16:17]
	s_cbranch_execz .LBB0_49
; %bb.38:
	v_mov_b32_e32 v9, 0
	v_mov_b32_e32 v10, 0x7ff80000
	s_mov_b32 s5, exec_lo
	v_cmpx_ngt_f64_e32 0, v[16:17]
	s_cbranch_execz .LBB0_48
; %bb.39:
	s_mov_b32 s1, exec_lo
	v_cmpx_ge_f64_e32 2.0, v[16:17]
	s_xor_b32 s6, exec_lo, s1
	s_cbranch_execz .LBB0_45
; %bb.40:
	v_mul_f64 v[2:3], v[16:17], 0.5
	s_mov_b32 s1, exec_lo
                                        ; implicit-def: $vgpr9_vgpr10
	v_cmpx_ge_f64_e32 0x40200000, v[16:17]
	s_xor_b32 s1, exec_lo, s1
	s_cbranch_execz .LBB0_42
; %bb.41:
	s_delay_alu instid0(VALU_DEP_2)
	v_add_f64 v[9:10], v[2:3], -2.0
	s_mov_b32 s8, 0x977da589
	s_mov_b32 s9, 0x3c833362
	;; [unrolled: 1-line block ×4, first 2 shown]
	v_cmp_nlt_f64_e32 vcc_lo, 0x40900000, v[16:17]
	s_delay_alu instid0(VALU_DEP_2) | instskip(SKIP_3) | instid1(VALU_DEP_1)
	v_fma_f64 v[18:19], v[9:10], s[10:11], s[8:9]
	s_mov_b32 s11, 0x3c545cb7
	s_mov_b32 s8, 0x721ebbb4
	;; [unrolled: 1-line block ×3, first 2 shown]
	v_fma_f64 v[20:21], v[9:10], v[18:19], s[10:11]
	s_mov_b32 s10, 0x6a5dcb37
	s_mov_b32 s11, 0x3e5ade15
	s_delay_alu instid0(VALU_DEP_1) | instskip(SKIP_2) | instid1(VALU_DEP_1)
	v_add_f64 v[20:21], v[20:21], s[8:9]
	s_mov_b32 s8, 0x93f65eba
	s_mov_b32 s9, 0x3cdee6d8
	v_fma_f64 v[18:19], v[9:10], v[20:21], -v[18:19]
	s_delay_alu instid0(VALU_DEP_1) | instskip(SKIP_2) | instid1(VALU_DEP_1)
	v_add_f64 v[18:19], v[18:19], s[8:9]
	s_mov_b32 s8, 0xc297fbeb
	s_mov_b32 s9, 0xbd0a5022
	v_fma_f64 v[20:21], v[9:10], v[18:19], -v[20:21]
	;; [unrolled: 5-line block ×20, first 2 shown]
	s_delay_alu instid0(VALU_DEP_1) | instskip(SKIP_2) | instid1(SALU_CYCLE_1)
	v_add_f64 v[20:21], v[20:21], s[8:9]
	s_mov_b32 s8, 0x652b82fe
	s_mov_b32 s9, 0x3ff71547
	v_mul_f64 v[24:25], v[16:17], s[8:9]
	s_mov_b32 s8, 0xf3dde3dd
	s_mov_b32 s9, 0x3f859961
	s_delay_alu instid0(VALU_DEP_2) | instskip(NEXT) | instid1(VALU_DEP_2)
	v_fma_f64 v[18:19], v[9:10], v[20:21], -v[18:19]
	v_rndne_f64_e32 v[24:25], v[24:25]
	s_delay_alu instid0(VALU_DEP_2)
	v_add_f64 v[18:19], v[18:19], s[8:9]
	s_mov_b32 s8, 0xfefa39ef
	s_mov_b32 s9, 0xbfe62e42
	s_delay_alu instid0(VALU_DEP_2) | instid1(SALU_CYCLE_1)
	v_fma_f64 v[26:27], v[24:25], s[8:9], v[16:17]
	s_mov_b32 s8, 0x3b39803f
	s_mov_b32 s9, 0xbc7abc9e
	s_delay_alu instid0(VALU_DEP_2) | instskip(NEXT) | instid1(VALU_DEP_2)
	v_fma_f64 v[20:21], v[9:10], v[18:19], -v[20:21]
	v_fma_f64 v[26:27], v[24:25], s[8:9], v[26:27]
	s_mov_b32 s8, 0xf121b6f0
	s_mov_b32 s9, 0xbf984e9e
	v_cvt_i32_f64_e32 v24, v[24:25]
	s_delay_alu instid0(VALU_DEP_3)
	v_add_f64 v[20:21], v[20:21], s[8:9]
	s_mov_b32 s8, 0xfca7ab0c
	s_mov_b32 s9, 0x3e928af3
	s_delay_alu instid0(VALU_DEP_3) | instid1(SALU_CYCLE_1)
	v_fma_f64 v[28:29], v[26:27], s[10:11], s[8:9]
	s_mov_b32 s8, 0x623fde64
	s_mov_b32 s9, 0x3ec71dee
	s_delay_alu instid0(VALU_DEP_2) | instskip(NEXT) | instid1(VALU_DEP_2)
	v_fma_f64 v[18:19], v[9:10], v[20:21], -v[18:19]
	v_fma_f64 v[28:29], v[26:27], v[28:29], s[8:9]
	s_mov_b32 s8, 0xcea8a32d
	s_mov_b32 s9, 0x3fa93e8a
	s_delay_alu instid0(VALU_DEP_2) | instid1(SALU_CYCLE_1)
	v_add_f64 v[18:19], v[18:19], s[8:9]
	s_mov_b32 s8, 0x7c89e6b0
	s_mov_b32 s9, 0x3efa0199
	s_delay_alu instid0(VALU_DEP_2) | instid1(SALU_CYCLE_1)
	v_fma_f64 v[28:29], v[26:27], v[28:29], s[8:9]
	s_mov_b32 s8, 0x14761f6e
	s_mov_b32 s9, 0x3f2a01a0
	s_delay_alu instid0(VALU_DEP_2) | instskip(NEXT) | instid1(VALU_DEP_2)
	v_fma_f64 v[20:21], v[9:10], v[18:19], -v[20:21]
	v_fma_f64 v[28:29], v[26:27], v[28:29], s[8:9]
	s_mov_b32 s8, 0x342d06ea
	s_mov_b32 s9, 0xbfb84b70
	s_delay_alu instid0(VALU_DEP_2) | instid1(SALU_CYCLE_1)
	v_add_f64 v[20:21], v[20:21], s[8:9]
	s_mov_b32 s8, 0x1852b7b0
	s_mov_b32 s9, 0x3f56c16c
	s_delay_alu instid0(VALU_DEP_2) | instid1(SALU_CYCLE_1)
	;; [unrolled: 13-line block ×4, first 2 shown]
	v_fma_f64 v[28:29], v[26:27], v[28:29], s[8:9]
	s_mov_b32 s8, 0x9035a22a
	s_mov_b32 s9, 0x3fe5a84e
	s_delay_alu instid0(VALU_DEP_2) | instskip(NEXT) | instid1(VALU_DEP_2)
	v_fma_f64 v[9:10], v[9:10], v[20:21], -v[18:19]
	v_fma_f64 v[20:21], v[26:27], v[28:29], 1.0
	s_delay_alu instid0(VALU_DEP_2) | instskip(NEXT) | instid1(VALU_DEP_2)
	v_add_f64 v[9:10], v[9:10], s[8:9]
	v_fma_f64 v[20:21], v[26:27], v[20:21], 1.0
	s_delay_alu instid0(VALU_DEP_2) | instskip(NEXT) | instid1(VALU_DEP_2)
	v_add_f64 v[9:10], v[9:10], -v[18:19]
	v_ldexp_f64 v[18:19], v[20:21], v24
	s_delay_alu instid0(VALU_DEP_2) | instskip(NEXT) | instid1(VALU_DEP_2)
	v_mul_f64 v[9:10], v[9:10], 0.5
	v_cndmask_b32_e32 v19, 0x7ff00000, v19, vcc_lo
	s_delay_alu instid0(VALU_DEP_3) | instskip(NEXT) | instid1(VALU_DEP_1)
	v_cndmask_b32_e32 v18, 0, v18, vcc_lo
	v_mul_f64 v[9:10], v[18:19], v[9:10]
.LBB0_42:
	s_and_not1_saveexec_b32 s7, s1
	s_cbranch_execz .LBB0_44
; %bb.43:
	v_div_scale_f64 v[9:10], null, v[16:17], v[16:17], 0x40400000
	v_div_scale_f64 v[24:25], vcc_lo, 0x40400000, v[16:17], 0x40400000
	s_mov_b32 s8, 0x66119130
	s_mov_b32 s9, 0xbc5646da
	s_mov_b32 s11, 0xbc60adb7
	s_mov_b32 s10, 0x54ca8b19
	v_cmp_nlt_f64_e64 s1, 0x40900000, v[16:17]
	s_delay_alu instid0(VALU_DEP_3) | instskip(SKIP_2) | instid1(VALU_DEP_1)
	v_rcp_f64_e32 v[18:19], v[9:10]
	s_waitcnt_depctr 0xfff
	v_fma_f64 v[20:21], -v[9:10], v[18:19], 1.0
	v_fma_f64 v[18:19], v[18:19], v[20:21], v[18:19]
	s_delay_alu instid0(VALU_DEP_1) | instskip(NEXT) | instid1(VALU_DEP_1)
	v_fma_f64 v[20:21], -v[9:10], v[18:19], 1.0
	v_fma_f64 v[18:19], v[18:19], v[20:21], v[18:19]
	s_delay_alu instid0(VALU_DEP_1) | instskip(NEXT) | instid1(VALU_DEP_1)
	v_mul_f64 v[20:21], v[24:25], v[18:19]
	v_fma_f64 v[9:10], -v[9:10], v[20:21], v[24:25]
	s_delay_alu instid0(VALU_DEP_1) | instskip(SKIP_1) | instid1(VALU_DEP_2)
	v_div_fmas_f64 v[9:10], v[9:10], v[18:19], v[20:21]
	v_cmp_gt_f64_e32 vcc_lo, 0x10000000, v[16:17]
	v_div_fixup_f64 v[9:10], v[9:10], v[16:17], 0x40400000
	v_cndmask_b32_e64 v30, 0, 1, vcc_lo
	s_delay_alu instid0(VALU_DEP_1) | instskip(NEXT) | instid1(VALU_DEP_1)
	v_lshlrev_b32_e32 v30, 8, v30
	v_ldexp_f64 v[30:31], v[16:17], v30
	s_delay_alu instid0(VALU_DEP_4) | instskip(NEXT) | instid1(VALU_DEP_2)
	v_add_f64 v[9:10], v[9:10], -2.0
	v_rsq_f64_e32 v[32:33], v[30:31]
	s_delay_alu instid0(VALU_DEP_1)
	v_fma_f64 v[18:19], v[9:10], s[10:11], s[8:9]
	s_mov_b32 s11, 0x3c60adb7
	s_mov_b32 s8, 0x12d98421
	;; [unrolled: 1-line block ×3, first 2 shown]
	s_waitcnt_depctr 0xfff
	v_mul_f64 v[34:35], v[30:31], v[32:33]
	v_mul_f64 v[32:33], v[32:33], 0.5
	v_fma_f64 v[20:21], v[9:10], v[18:19], s[10:11]
	s_mov_b32 s10, 0x6a5dcb37
	s_mov_b32 s11, 0x3e5ade15
	s_delay_alu instid0(VALU_DEP_2) | instskip(NEXT) | instid1(VALU_DEP_2)
	v_fma_f64 v[36:37], -v[32:33], v[34:35], 0.5
	v_add_f64 v[20:21], v[20:21], s[8:9]
	s_mov_b32 s8, 0x76041cd
	s_mov_b32 s9, 0x3c83f3dd
	s_delay_alu instid0(VALU_DEP_2) | instskip(SKIP_1) | instid1(VALU_DEP_3)
	v_fma_f64 v[34:35], v[34:35], v[36:37], v[34:35]
	v_fma_f64 v[32:33], v[32:33], v[36:37], v[32:33]
	v_fma_f64 v[18:19], v[9:10], v[20:21], -v[18:19]
	s_delay_alu instid0(VALU_DEP_3) | instskip(NEXT) | instid1(VALU_DEP_2)
	v_fma_f64 v[36:37], -v[34:35], v[34:35], v[30:31]
	v_add_f64 v[18:19], v[18:19], s[8:9]
	s_mov_b32 s8, 0xabd21fe4
	s_mov_b32 s9, 0xbcb4600b
	s_delay_alu instid0(VALU_DEP_1) | instskip(NEXT) | instid1(VALU_DEP_1)
	v_fma_f64 v[20:21], v[9:10], v[18:19], -v[20:21]
	v_add_f64 v[20:21], v[20:21], s[8:9]
	s_mov_b32 s8, 0xd908de38
	s_mov_b32 s9, 0xbcb8aee7
	s_delay_alu instid0(VALU_DEP_1) | instskip(NEXT) | instid1(VALU_DEP_1)
	v_fma_f64 v[18:19], v[9:10], v[20:21], -v[18:19]
	v_add_f64 v[18:19], v[18:19], s[8:9]
	s_mov_b32 s8, 0xa3eafb1f
	s_mov_b32 s9, 0x3cdfee7d
	s_delay_alu instid0(VALU_DEP_1) | instskip(NEXT) | instid1(VALU_DEP_1)
	v_fma_f64 v[20:21], v[9:10], v[18:19], -v[20:21]
	v_add_f64 v[20:21], v[20:21], s[8:9]
	s_mov_b32 s8, 0x9094e6d7
	s_mov_b32 s9, 0x3cf12a91
	s_delay_alu instid0(VALU_DEP_1) | instskip(NEXT) | instid1(VALU_DEP_1)
	v_fma_f64 v[18:19], v[9:10], v[20:21], -v[18:19]
	v_add_f64 v[18:19], v[18:19], s[8:9]
	s_mov_b32 s8, 0x7e65629a
	s_mov_b32 s9, 0xbd0583fe
	s_delay_alu instid0(VALU_DEP_1) | instskip(NEXT) | instid1(VALU_DEP_1)
	v_fma_f64 v[20:21], v[9:10], v[18:19], -v[20:21]
	v_add_f64 v[20:21], v[20:21], s[8:9]
	s_mov_b32 s8, 0xcf68bb32
	s_mov_b32 s9, 0xbd275d99
	s_delay_alu instid0(VALU_DEP_1) | instskip(NEXT) | instid1(VALU_DEP_1)
	v_fma_f64 v[18:19], v[9:10], v[20:21], -v[18:19]
	v_add_f64 v[18:19], v[18:19], s[8:9]
	s_mov_b32 s8, 0xd5fc545
	s_mov_b32 s9, 0x3d1156ff
	s_delay_alu instid0(VALU_DEP_1) | instskip(NEXT) | instid1(VALU_DEP_1)
	v_fma_f64 v[20:21], v[9:10], v[18:19], -v[20:21]
	v_add_f64 v[20:21], v[20:21], s[8:9]
	s_mov_b32 s8, 0x6b83c073
	s_mov_b32 s9, 0x3d5b1c8c
	s_delay_alu instid0(VALU_DEP_1) | instskip(NEXT) | instid1(VALU_DEP_1)
	v_fma_f64 v[18:19], v[9:10], v[20:21], -v[18:19]
	v_add_f64 v[18:19], v[18:19], s[8:9]
	s_mov_b32 s8, 0xfa268cec
	s_mov_b32 s9, 0x3d694347
	s_delay_alu instid0(VALU_DEP_1) | instskip(NEXT) | instid1(VALU_DEP_1)
	v_fma_f64 v[20:21], v[9:10], v[18:19], -v[20:21]
	v_add_f64 v[20:21], v[20:21], s[8:9]
	s_mov_b32 s8, 0x3178d66
	s_mov_b32 s9, 0xbd7f9043
	s_delay_alu instid0(VALU_DEP_1) | instskip(NEXT) | instid1(VALU_DEP_1)
	v_fma_f64 v[18:19], v[9:10], v[20:21], -v[18:19]
	v_add_f64 v[18:19], v[18:19], s[8:9]
	s_mov_b32 s8, 0x357e7bf2
	s_mov_b32 s9, 0xbdad0fd7
	s_delay_alu instid0(VALU_DEP_1) | instskip(NEXT) | instid1(VALU_DEP_1)
	v_fma_f64 v[20:21], v[9:10], v[18:19], -v[20:21]
	v_add_f64 v[20:21], v[20:21], s[8:9]
	s_mov_b32 s8, 0x8397425
	s_mov_b32 s9, 0xbdc1511d
	s_delay_alu instid0(VALU_DEP_1) | instskip(NEXT) | instid1(VALU_DEP_1)
	v_fma_f64 v[18:19], v[9:10], v[20:21], -v[18:19]
	v_add_f64 v[18:19], v[18:19], s[8:9]
	s_mov_b32 s8, 0xabe8004f
	s_mov_b32 s9, 0x3daa24fe
	s_delay_alu instid0(VALU_DEP_1) | instskip(NEXT) | instid1(VALU_DEP_1)
	v_fma_f64 v[20:21], v[9:10], v[18:19], -v[20:21]
	v_add_f64 v[20:21], v[20:21], s[8:9]
	s_mov_b32 s8, 0xc0f46f75
	s_mov_b32 s9, 0x3e00f9cc
	s_delay_alu instid0(VALU_DEP_1) | instskip(NEXT) | instid1(VALU_DEP_1)
	v_fma_f64 v[18:19], v[9:10], v[20:21], -v[18:19]
	v_add_f64 v[18:19], v[18:19], s[8:9]
	s_mov_b32 s8, 0x652b82fe
	s_mov_b32 s9, 0x3ff71547
	s_delay_alu instid0(SALU_CYCLE_1) | instskip(SKIP_2) | instid1(VALU_DEP_2)
	v_mul_f64 v[24:25], v[16:17], s[8:9]
	s_mov_b32 s8, 0xa9225b87
	s_mov_b32 s9, 0x3e2d2c64
	v_fma_f64 v[20:21], v[9:10], v[18:19], -v[20:21]
	s_delay_alu instid0(VALU_DEP_2) | instskip(NEXT) | instid1(VALU_DEP_2)
	v_rndne_f64_e32 v[24:25], v[24:25]
	v_add_f64 v[20:21], v[20:21], s[8:9]
	s_mov_b32 s8, 0xfefa39ef
	s_mov_b32 s9, 0xbfe62e42
	s_delay_alu instid0(VALU_DEP_2) | instid1(SALU_CYCLE_1)
	v_fma_f64 v[26:27], v[24:25], s[8:9], v[16:17]
	s_mov_b32 s8, 0x3b39803f
	s_mov_b32 s9, 0xbc7abc9e
	s_delay_alu instid0(VALU_DEP_2) | instskip(NEXT) | instid1(VALU_DEP_2)
	v_fma_f64 v[18:19], v[9:10], v[20:21], -v[18:19]
	v_fma_f64 v[26:27], v[24:25], s[8:9], v[26:27]
	s_mov_b32 s8, 0x80d6d56d
	s_mov_b32 s9, 0x3e585692
	s_delay_alu instid0(VALU_DEP_2) | instid1(SALU_CYCLE_1)
	v_add_f64 v[18:19], v[18:19], s[8:9]
	s_mov_b32 s8, 0xfca7ab0c
	s_mov_b32 s9, 0x3e928af3
	s_delay_alu instid0(VALU_DEP_2) | instid1(SALU_CYCLE_1)
	v_fma_f64 v[28:29], v[26:27], s[10:11], s[8:9]
	s_mov_b32 s8, 0x623fde64
	s_mov_b32 s9, 0x3ec71dee
	s_delay_alu instid0(VALU_DEP_2) | instskip(NEXT) | instid1(VALU_DEP_2)
	v_fma_f64 v[20:21], v[9:10], v[18:19], -v[20:21]
	v_fma_f64 v[28:29], v[26:27], v[28:29], s[8:9]
	s_mov_b32 s8, 0xd9cd616e
	s_mov_b32 s9, 0x3e8b8007
	s_delay_alu instid0(VALU_DEP_2) | instid1(SALU_CYCLE_1)
	;; [unrolled: 13-line block ×5, first 2 shown]
	v_add_f64 v[18:19], v[18:19], s[8:9]
	s_mov_b32 s8, 11
	s_mov_b32 s9, 0x3fe00000
	s_delay_alu instid0(VALU_DEP_2) | instid1(SALU_CYCLE_1)
	v_fma_f64 v[28:29], v[26:27], v[28:29], s[8:9]
	s_mov_b32 s8, 0xaca809cb
	s_mov_b32 s9, 0x3fe9be62
	s_delay_alu instid0(VALU_DEP_2) | instskip(SKIP_2) | instid1(VALU_DEP_4)
	v_fma_f64 v[9:10], v[9:10], v[18:19], -v[20:21]
	v_fma_f64 v[18:19], v[36:37], v[32:33], v[34:35]
	v_cvt_i32_f64_e32 v34, v[24:25]
	v_fma_f64 v[28:29], v[26:27], v[28:29], 1.0
	s_delay_alu instid0(VALU_DEP_4) | instskip(NEXT) | instid1(VALU_DEP_4)
	v_add_f64 v[9:10], v[9:10], s[8:9]
	v_fma_f64 v[24:25], -v[18:19], v[18:19], v[30:31]
	s_delay_alu instid0(VALU_DEP_3) | instskip(NEXT) | instid1(VALU_DEP_3)
	v_fma_f64 v[26:27], v[26:27], v[28:29], 1.0
	v_add_f64 v[9:10], v[9:10], -v[20:21]
	s_delay_alu instid0(VALU_DEP_3) | instskip(SKIP_4) | instid1(VALU_DEP_4)
	v_fma_f64 v[18:19], v[24:25], v[32:33], v[18:19]
	v_cndmask_b32_e64 v24, 0, 0xffffff80, vcc_lo
	v_cmp_class_f64_e64 vcc_lo, v[30:31], 0x260
	v_ldexp_f64 v[20:21], v[26:27], v34
	v_mul_f64 v[9:10], v[9:10], 0.5
	v_ldexp_f64 v[18:19], v[18:19], v24
	s_delay_alu instid0(VALU_DEP_3) | instskip(NEXT) | instid1(VALU_DEP_4)
	v_cndmask_b32_e64 v21, 0x7ff00000, v21, s1
	v_cndmask_b32_e64 v20, 0, v20, s1
	s_delay_alu instid0(VALU_DEP_1) | instskip(NEXT) | instid1(VALU_DEP_4)
	v_mul_f64 v[9:10], v[20:21], v[9:10]
	v_dual_cndmask_b32 v19, v19, v31 :: v_dual_cndmask_b32 v18, v18, v30
	s_delay_alu instid0(VALU_DEP_1) | instskip(NEXT) | instid1(VALU_DEP_1)
	v_div_scale_f64 v[20:21], null, v[18:19], v[18:19], v[9:10]
	v_rcp_f64_e32 v[24:25], v[20:21]
	s_waitcnt_depctr 0xfff
	v_fma_f64 v[26:27], -v[20:21], v[24:25], 1.0
	s_delay_alu instid0(VALU_DEP_1) | instskip(NEXT) | instid1(VALU_DEP_1)
	v_fma_f64 v[24:25], v[24:25], v[26:27], v[24:25]
	v_fma_f64 v[26:27], -v[20:21], v[24:25], 1.0
	s_delay_alu instid0(VALU_DEP_1) | instskip(SKIP_1) | instid1(VALU_DEP_1)
	v_fma_f64 v[24:25], v[24:25], v[26:27], v[24:25]
	v_div_scale_f64 v[26:27], vcc_lo, v[9:10], v[18:19], v[9:10]
	v_mul_f64 v[28:29], v[26:27], v[24:25]
	s_delay_alu instid0(VALU_DEP_1) | instskip(NEXT) | instid1(VALU_DEP_1)
	v_fma_f64 v[20:21], -v[20:21], v[28:29], v[26:27]
	v_div_fmas_f64 v[20:21], v[20:21], v[24:25], v[28:29]
	s_delay_alu instid0(VALU_DEP_1)
	v_div_fixup_f64 v[9:10], v[20:21], v[18:19], v[9:10]
.LBB0_44:
	s_or_b32 exec_lo, exec_lo, s7
	s_delay_alu instid0(VALU_DEP_2)
	v_frexp_mant_f64_e32 v[18:19], v[2:3]
	s_mov_b32 s9, 0x3fe55555
	s_mov_b32 s8, 0x55555555
	v_mov_b32_e32 v20, 0
	s_mov_b32 s10, 0x6b47b09a
	s_mov_b32 s12, 0xbf559e2b
	;; [unrolled: 1-line block ×4, first 2 shown]
	v_fma_f64 v[16:17], v[16:17], v[16:17], -2.0
	s_delay_alu instid0(VALU_DEP_3) | instskip(SKIP_2) | instid1(VALU_DEP_1)
	v_cmp_gt_f64_e32 vcc_lo, s[8:9], v[18:19]
	s_mov_b32 s8, 0x55555780
	v_cndmask_b32_e64 v21, 0x3ff00000, 2.0, vcc_lo
	v_mul_f64 v[18:19], v[18:19], v[20:21]
	s_delay_alu instid0(VALU_DEP_1) | instskip(SKIP_1) | instid1(VALU_DEP_2)
	v_add_f64 v[20:21], v[18:19], 1.0
	v_add_f64 v[28:29], v[18:19], -1.0
	v_rcp_f64_e32 v[24:25], v[20:21]
	v_add_f64 v[30:31], v[20:21], -1.0
	s_delay_alu instid0(VALU_DEP_1) | instskip(SKIP_2) | instid1(VALU_DEP_1)
	v_add_f64 v[18:19], v[18:19], -v[30:31]
	s_waitcnt_depctr 0xfff
	v_fma_f64 v[26:27], -v[20:21], v[24:25], 1.0
	v_fma_f64 v[24:25], v[26:27], v[24:25], v[24:25]
	s_delay_alu instid0(VALU_DEP_1) | instskip(NEXT) | instid1(VALU_DEP_1)
	v_fma_f64 v[26:27], -v[20:21], v[24:25], 1.0
	v_fma_f64 v[24:25], v[26:27], v[24:25], v[24:25]
	s_delay_alu instid0(VALU_DEP_1) | instskip(NEXT) | instid1(VALU_DEP_1)
	v_mul_f64 v[26:27], v[28:29], v[24:25]
	v_mul_f64 v[32:33], v[20:21], v[26:27]
	s_delay_alu instid0(VALU_DEP_1) | instskip(NEXT) | instid1(VALU_DEP_1)
	v_fma_f64 v[20:21], v[26:27], v[20:21], -v[32:33]
	v_fma_f64 v[18:19], v[26:27], v[18:19], v[20:21]
	s_delay_alu instid0(VALU_DEP_1) | instskip(NEXT) | instid1(VALU_DEP_1)
	v_add_f64 v[20:21], v[32:33], v[18:19]
	v_add_f64 v[30:31], v[28:29], -v[20:21]
	v_add_f64 v[32:33], v[20:21], -v[32:33]
	s_delay_alu instid0(VALU_DEP_2) | instskip(NEXT) | instid1(VALU_DEP_2)
	v_add_f64 v[28:29], v[28:29], -v[30:31]
	v_add_f64 v[18:19], v[32:33], -v[18:19]
	v_frexp_exp_i32_f64_e32 v32, v[2:3]
	s_delay_alu instid0(VALU_DEP_3) | instskip(NEXT) | instid1(VALU_DEP_1)
	v_add_f64 v[20:21], v[28:29], -v[20:21]
	v_add_f64 v[18:19], v[18:19], v[20:21]
	s_delay_alu instid0(VALU_DEP_1) | instskip(NEXT) | instid1(VALU_DEP_1)
	v_add_f64 v[18:19], v[30:31], v[18:19]
	v_mul_f64 v[18:19], v[24:25], v[18:19]
	s_delay_alu instid0(VALU_DEP_1) | instskip(NEXT) | instid1(VALU_DEP_1)
	v_add_f64 v[20:21], v[26:27], v[18:19]
	v_mul_f64 v[24:25], v[20:21], v[20:21]
	s_delay_alu instid0(VALU_DEP_1) | instskip(SKIP_3) | instid1(VALU_DEP_2)
	v_fma_f64 v[28:29], v[24:25], s[12:13], s[10:11]
	s_mov_b32 s10, 0xd7f4df2e
	s_mov_b32 s11, 0x3fc7474d
	v_mul_f64 v[30:31], v[20:21], v[24:25]
	v_fma_f64 v[28:29], v[24:25], v[28:29], s[10:11]
	s_mov_b32 s10, 0x16291751
	s_mov_b32 s11, 0x3fcc71c0
	s_delay_alu instid0(VALU_DEP_1) | instid1(SALU_CYCLE_1)
	v_fma_f64 v[28:29], v[24:25], v[28:29], s[10:11]
	s_mov_b32 s10, 0x9b27acf1
	s_mov_b32 s11, 0x3fd24924
	s_delay_alu instid0(VALU_DEP_1) | instid1(SALU_CYCLE_1)
	v_fma_f64 v[28:29], v[24:25], v[28:29], s[10:11]
	s_mov_b32 s10, 0x998ef7b6
	s_mov_b32 s11, 0x3fd99999
	s_delay_alu instid0(VALU_DEP_1) | instid1(SALU_CYCLE_1)
	v_fma_f64 v[28:29], v[24:25], v[28:29], s[10:11]
	s_mov_b32 s11, 0x3ca3cee1
	s_mov_b32 s10, 0xe6a7fd77
	s_delay_alu instid0(VALU_DEP_1) | instskip(SKIP_4) | instid1(VALU_DEP_3)
	v_fma_f64 v[24:25], v[24:25], v[28:29], s[8:9]
	v_ldexp_f64 v[28:29], v[20:21], 1
	v_add_f64 v[20:21], v[20:21], -v[26:27]
	s_mov_b32 s8, 0xc384c2aa
	s_mov_b32 s9, 0x3d27fb0a
	v_mul_f64 v[24:25], v[30:31], v[24:25]
	v_subrev_co_ci_u32_e32 v30, vcc_lo, 0, v32, vcc_lo
	v_fma_f64 v[32:33], v[16:17], s[10:11], s[8:9]
	s_mov_b32 s8, 0xfefa39ef
	s_mov_b32 s9, 0x3fe62e42
	s_delay_alu instid0(VALU_DEP_2) | instskip(SKIP_4) | instid1(VALU_DEP_4)
	v_cvt_f64_i32_e32 v[30:31], v30
	v_add_f64 v[18:19], v[18:19], -v[20:21]
	s_mov_b32 s11, 0xbca3cee1
	v_cmp_eq_f64_e32 vcc_lo, 0x7ff00000, v[2:3]
	v_add_f64 v[26:27], v[28:29], v[24:25]
	v_mul_f64 v[34:35], v[30:31], s[8:9]
	s_delay_alu instid0(VALU_DEP_4) | instskip(NEXT) | instid1(VALU_DEP_3)
	v_ldexp_f64 v[18:19], v[18:19], 1
	v_add_f64 v[20:21], v[26:27], -v[28:29]
	v_fma_f64 v[28:29], v[16:17], v[32:33], s[10:11]
	s_delay_alu instid0(VALU_DEP_4) | instskip(SKIP_2) | instid1(VALU_DEP_3)
	v_fma_f64 v[36:37], v[30:31], s[8:9], -v[34:35]
	s_mov_b32 s8, 0x47512144
	s_mov_b32 s9, 0x3da6c25c
	v_add_f64 v[20:21], v[24:25], -v[20:21]
	s_delay_alu instid0(VALU_DEP_3)
	v_add_f64 v[24:25], v[28:29], s[8:9]
	s_mov_b32 s8, 0x3b39803f
	s_mov_b32 s9, 0x3c7abc9e
	s_delay_alu instid0(VALU_DEP_3) | instid1(SALU_CYCLE_1)
	v_fma_f64 v[28:29], v[30:31], s[8:9], v[36:37]
	s_mov_b32 s8, 0x67e58a13
	s_mov_b32 s9, 0x3e205c13
	s_delay_alu instid0(VALU_DEP_3) | instskip(NEXT) | instid1(VALU_DEP_3)
	v_add_f64 v[18:19], v[18:19], v[20:21]
	v_fma_f64 v[20:21], v[16:17], v[24:25], -v[32:33]
	s_delay_alu instid0(VALU_DEP_3) | instskip(NEXT) | instid1(VALU_DEP_3)
	v_add_f64 v[30:31], v[34:35], v[28:29]
	v_add_f64 v[32:33], v[26:27], v[18:19]
	s_delay_alu instid0(VALU_DEP_3) | instskip(SKIP_2) | instid1(VALU_DEP_3)
	v_add_f64 v[20:21], v[20:21], s[8:9]
	s_mov_b32 s8, 0xe7f95efc
	s_mov_b32 s9, 0x3e9102bc
	v_add_f64 v[34:35], v[30:31], -v[34:35]
	s_delay_alu instid0(VALU_DEP_3) | instskip(NEXT) | instid1(VALU_DEP_3)
	v_add_f64 v[36:37], v[30:31], v[32:33]
	v_fma_f64 v[24:25], v[16:17], v[20:21], -v[24:25]
	v_add_f64 v[26:27], v[32:33], -v[26:27]
	s_delay_alu instid0(VALU_DEP_4) | instskip(NEXT) | instid1(VALU_DEP_4)
	v_add_f64 v[28:29], v[28:29], -v[34:35]
	v_add_f64 v[38:39], v[36:37], -v[30:31]
	s_delay_alu instid0(VALU_DEP_4) | instskip(NEXT) | instid1(VALU_DEP_4)
	v_add_f64 v[24:25], v[24:25], s[8:9]
	v_add_f64 v[18:19], v[18:19], -v[26:27]
	s_mov_b32 s8, 0xfe8cfca0
	s_mov_b32 s9, 0x3ef7f900
	s_delay_alu instid0(VALU_DEP_3) | instskip(NEXT) | instid1(VALU_DEP_3)
	v_add_f64 v[48:49], v[36:37], -v[38:39]
	v_fma_f64 v[20:21], v[16:17], v[24:25], -v[20:21]
	v_add_f64 v[26:27], v[32:33], -v[38:39]
	s_delay_alu instid0(VALU_DEP_4) | instskip(NEXT) | instid1(VALU_DEP_4)
	v_add_f64 v[32:33], v[28:29], v[18:19]
	v_add_f64 v[30:31], v[30:31], -v[48:49]
	s_delay_alu instid0(VALU_DEP_4) | instskip(SKIP_2) | instid1(VALU_DEP_2)
	v_add_f64 v[20:21], v[20:21], s[8:9]
	s_mov_b32 s8, 0x75633d73
	s_mov_b32 s9, 0x3f54b82e
	v_add_f64 v[26:27], v[26:27], v[30:31]
	s_delay_alu instid0(VALU_DEP_2) | instskip(SKIP_1) | instid1(VALU_DEP_3)
	v_fma_f64 v[24:25], v[16:17], v[20:21], -v[24:25]
	v_add_f64 v[30:31], v[32:33], -v[28:29]
	v_add_f64 v[26:27], v[32:33], v[26:27]
	s_delay_alu instid0(VALU_DEP_3) | instskip(NEXT) | instid1(VALU_DEP_3)
	v_add_f64 v[24:25], v[24:25], s[8:9]
	v_add_f64 v[32:33], v[32:33], -v[30:31]
	v_add_f64 v[18:19], v[18:19], -v[30:31]
	s_mov_b32 s8, 0x554a9085
	s_mov_b32 s9, 0x3fa26bf6
	s_delay_alu instid0(VALU_DEP_4) | instskip(NEXT) | instid1(VALU_DEP_4)
	v_add_f64 v[34:35], v[36:37], v[26:27]
	v_fma_f64 v[20:21], v[16:17], v[24:25], -v[20:21]
	s_delay_alu instid0(VALU_DEP_4) | instskip(NEXT) | instid1(VALU_DEP_3)
	v_add_f64 v[28:29], v[28:29], -v[32:33]
	v_add_f64 v[30:31], v[34:35], -v[36:37]
	s_delay_alu instid0(VALU_DEP_3) | instskip(NEXT) | instid1(VALU_DEP_3)
	v_add_f64 v[20:21], v[20:21], s[8:9]
	v_add_f64 v[18:19], v[18:19], v[28:29]
	s_mov_b32 s8, 0x81213db9
	s_mov_b32 s9, 0x3fd608d8
	s_delay_alu instid0(VALU_DEP_3) | instskip(NEXT) | instid1(VALU_DEP_3)
	v_add_f64 v[26:27], v[26:27], -v[30:31]
	v_fma_f64 v[24:25], v[16:17], v[20:21], -v[24:25]
	s_delay_alu instid0(VALU_DEP_2) | instskip(NEXT) | instid1(VALU_DEP_2)
	v_add_f64 v[18:19], v[18:19], v[26:27]
	v_add_f64 v[24:25], v[24:25], s[8:9]
	s_mov_b32 s8, 0xe9d2f61f
	s_mov_b32 s9, 0xbfe12166
	s_delay_alu instid0(VALU_DEP_2) | instskip(NEXT) | instid1(VALU_DEP_2)
	v_add_f64 v[18:19], v[34:35], v[18:19]
	v_fma_f64 v[16:17], v[16:17], v[24:25], -v[20:21]
	s_delay_alu instid0(VALU_DEP_2) | instskip(SKIP_1) | instid1(VALU_DEP_3)
	v_dual_cndmask_b32 v19, v19, v3 :: v_dual_cndmask_b32 v18, v18, v2
	v_cmp_neq_f64_e32 vcc_lo, 0, v[2:3]
	v_add_f64 v[2:3], v[16:17], s[8:9]
	s_delay_alu instid0(VALU_DEP_3) | instskip(NEXT) | instid1(VALU_DEP_4)
	v_cndmask_b32_e32 v17, 0xfff00000, v19, vcc_lo
	v_cndmask_b32_e32 v16, 0, v18, vcc_lo
	s_delay_alu instid0(VALU_DEP_3) | instskip(NEXT) | instid1(VALU_DEP_2)
	v_add_f64 v[2:3], v[2:3], -v[20:21]
	v_mul_f64 v[9:10], v[16:17], v[9:10]
                                        ; implicit-def: $vgpr16_vgpr17
	s_delay_alu instid0(VALU_DEP_1)
	v_fma_f64 v[9:10], v[2:3], 0.5, -v[9:10]
.LBB0_45:
	s_and_not1_saveexec_b32 s6, s6
	s_cbranch_execz .LBB0_47
; %bb.46:
	v_div_scale_f64 v[2:3], null, v[16:17], v[16:17], 0x40200000
	v_div_scale_f64 v[20:21], vcc_lo, 0x40200000, v[16:17], 0x40200000
	s_mov_b32 s8, 0x93812603
	s_mov_b32 s9, 0xbc72fecc
	;; [unrolled: 1-line block ×4, first 2 shown]
	v_cmp_nlt_f64_e64 s1, 0x4090cc00, v[16:17]
	s_delay_alu instid0(VALU_DEP_3) | instskip(SKIP_2) | instid1(VALU_DEP_1)
	v_rcp_f64_e32 v[9:10], v[2:3]
	s_waitcnt_depctr 0xfff
	v_fma_f64 v[18:19], -v[2:3], v[9:10], 1.0
	v_fma_f64 v[9:10], v[9:10], v[18:19], v[9:10]
	s_delay_alu instid0(VALU_DEP_1) | instskip(NEXT) | instid1(VALU_DEP_1)
	v_fma_f64 v[18:19], -v[2:3], v[9:10], 1.0
	v_fma_f64 v[9:10], v[9:10], v[18:19], v[9:10]
	s_delay_alu instid0(VALU_DEP_1) | instskip(NEXT) | instid1(VALU_DEP_1)
	v_mul_f64 v[18:19], v[20:21], v[9:10]
	v_fma_f64 v[2:3], -v[2:3], v[18:19], v[20:21]
	s_delay_alu instid0(VALU_DEP_1) | instskip(SKIP_1) | instid1(VALU_DEP_2)
	v_div_fmas_f64 v[2:3], v[2:3], v[9:10], v[18:19]
	v_cmp_gt_f64_e32 vcc_lo, 0x10000000, v[16:17]
	v_div_fixup_f64 v[2:3], v[2:3], v[16:17], 0x40200000
	v_cndmask_b32_e64 v28, 0, 1, vcc_lo
	s_delay_alu instid0(VALU_DEP_1) | instskip(NEXT) | instid1(VALU_DEP_1)
	v_lshlrev_b32_e32 v28, 8, v28
	v_ldexp_f64 v[28:29], v[16:17], v28
	s_delay_alu instid0(VALU_DEP_4) | instskip(NEXT) | instid1(VALU_DEP_2)
	v_add_f64 v[2:3], v[2:3], -2.0
	v_rsq_f64_e32 v[30:31], v[28:29]
	s_delay_alu instid0(VALU_DEP_1)
	v_fma_f64 v[9:10], v[2:3], s[10:11], s[8:9]
	s_mov_b32 s11, 0xbc5871a5
	s_mov_b32 s8, 0x41a8cdf4
	;; [unrolled: 1-line block ×3, first 2 shown]
	s_waitcnt_depctr 0xfff
	v_mul_f64 v[32:33], v[28:29], v[30:31]
	v_mul_f64 v[30:31], v[30:31], 0.5
	v_fma_f64 v[18:19], v[2:3], v[9:10], s[10:11]
	s_mov_b32 s10, 0x6a5dcb37
	s_mov_b32 s11, 0x3e5ade15
	s_delay_alu instid0(VALU_DEP_2) | instskip(NEXT) | instid1(VALU_DEP_2)
	v_fma_f64 v[34:35], -v[30:31], v[32:33], 0.5
	v_add_f64 v[18:19], v[18:19], s[8:9]
	s_mov_b32 s8, 0x74d77641
	s_mov_b32 s9, 0xbca82f94
	s_delay_alu instid0(VALU_DEP_2) | instskip(SKIP_1) | instid1(VALU_DEP_3)
	v_fma_f64 v[32:33], v[32:33], v[34:35], v[32:33]
	v_fma_f64 v[30:31], v[30:31], v[34:35], v[30:31]
	v_fma_f64 v[9:10], v[2:3], v[18:19], -v[9:10]
	s_delay_alu instid0(VALU_DEP_3) | instskip(NEXT) | instid1(VALU_DEP_2)
	v_fma_f64 v[34:35], -v[32:33], v[32:33], v[28:29]
	v_add_f64 v[9:10], v[9:10], s[8:9]
	s_mov_b32 s8, 0x6b94785b
	s_mov_b32 s9, 0x3cc3dbf9
	s_delay_alu instid0(VALU_DEP_1) | instskip(NEXT) | instid1(VALU_DEP_1)
	v_fma_f64 v[18:19], v[2:3], v[9:10], -v[18:19]
	v_add_f64 v[18:19], v[18:19], s[8:9]
	s_mov_b32 s8, 0xecfadd36
	s_mov_b32 s9, 0xbce0a690
	s_delay_alu instid0(VALU_DEP_1) | instskip(NEXT) | instid1(VALU_DEP_1)
	v_fma_f64 v[9:10], v[2:3], v[18:19], -v[9:10]
	v_add_f64 v[9:10], v[9:10], s[8:9]
	s_mov_b32 s8, 0x4a7ddc98
	s_mov_b32 s9, 0x3cfc8d9c
	s_delay_alu instid0(VALU_DEP_1) | instskip(NEXT) | instid1(VALU_DEP_1)
	v_fma_f64 v[18:19], v[2:3], v[9:10], -v[18:19]
	v_add_f64 v[18:19], v[18:19], s[8:9]
	s_mov_b32 s8, 0xbb056fc2
	s_mov_b32 s9, 0xbd19145e
	s_delay_alu instid0(VALU_DEP_1) | instskip(NEXT) | instid1(VALU_DEP_1)
	v_fma_f64 v[9:10], v[2:3], v[18:19], -v[9:10]
	v_add_f64 v[9:10], v[9:10], s[8:9]
	s_mov_b32 s8, 0xcd94cfe2
	s_mov_b32 s9, 0x3d369c4e
	s_delay_alu instid0(VALU_DEP_1) | instskip(NEXT) | instid1(VALU_DEP_1)
	v_fma_f64 v[18:19], v[2:3], v[9:10], -v[18:19]
	v_add_f64 v[18:19], v[18:19], s[8:9]
	s_mov_b32 s8, 0x21a470d1
	s_mov_b32 s9, 0xbd54f877
	s_delay_alu instid0(VALU_DEP_1) | instskip(NEXT) | instid1(VALU_DEP_1)
	v_fma_f64 v[9:10], v[2:3], v[18:19], -v[9:10]
	v_add_f64 v[9:10], v[9:10], s[8:9]
	s_mov_b32 s8, 0x2fccfc25
	s_mov_b32 s9, 0x3d740fa3
	s_delay_alu instid0(VALU_DEP_1) | instskip(NEXT) | instid1(VALU_DEP_1)
	v_fma_f64 v[18:19], v[2:3], v[9:10], -v[18:19]
	v_add_f64 v[18:19], v[18:19], s[8:9]
	s_mov_b32 s8, 0x3f005143
	s_mov_b32 s9, 0xbd93dafc
	s_delay_alu instid0(VALU_DEP_1) | instskip(NEXT) | instid1(VALU_DEP_1)
	v_fma_f64 v[9:10], v[2:3], v[18:19], -v[9:10]
	v_add_f64 v[9:10], v[9:10], s[8:9]
	s_mov_b32 s8, 0x475fbcc7
	s_mov_b32 s9, 0x3db46808
	s_delay_alu instid0(VALU_DEP_1) | instskip(NEXT) | instid1(VALU_DEP_1)
	v_fma_f64 v[18:19], v[2:3], v[9:10], -v[18:19]
	v_add_f64 v[18:19], v[18:19], s[8:9]
	s_mov_b32 s8, 0xd2e7c935
	s_mov_b32 s9, 0xbdd5df95
	s_delay_alu instid0(VALU_DEP_1) | instskip(NEXT) | instid1(VALU_DEP_1)
	v_fma_f64 v[9:10], v[2:3], v[18:19], -v[9:10]
	v_add_f64 v[9:10], v[9:10], s[8:9]
	s_mov_b32 s8, 0x819ff608
	s_mov_b32 s9, 0x3df8956c
	s_delay_alu instid0(VALU_DEP_1) | instskip(NEXT) | instid1(VALU_DEP_1)
	v_fma_f64 v[18:19], v[2:3], v[9:10], -v[18:19]
	v_add_f64 v[18:19], v[18:19], s[8:9]
	s_mov_b32 s8, 0xf22bf5db
	s_mov_b32 s9, 0xbe1d29d5
	s_delay_alu instid0(VALU_DEP_1) | instskip(NEXT) | instid1(VALU_DEP_1)
	v_fma_f64 v[9:10], v[2:3], v[18:19], -v[9:10]
	v_add_f64 v[9:10], v[9:10], s[8:9]
	s_mov_b32 s8, 0x33f428e
	s_mov_b32 s9, 0x3e4269a0
	s_delay_alu instid0(VALU_DEP_1) | instskip(NEXT) | instid1(VALU_DEP_1)
	v_fma_f64 v[18:19], v[2:3], v[9:10], -v[18:19]
	v_add_f64 v[18:19], v[18:19], s[8:9]
	s_mov_b32 s8, 0x1b54f2af
	s_mov_b32 s9, 0xbe690554
	s_delay_alu instid0(VALU_DEP_1) | instskip(NEXT) | instid1(VALU_DEP_1)
	v_fma_f64 v[9:10], v[2:3], v[18:19], -v[9:10]
	v_add_f64 v[9:10], v[9:10], s[8:9]
	s_mov_b32 s8, 0x652b82fe
	s_mov_b32 s9, 0xbff71547
	s_delay_alu instid0(SALU_CYCLE_1) | instskip(SKIP_2) | instid1(VALU_DEP_2)
	v_mul_f64 v[20:21], v[16:17], s[8:9]
	s_mov_b32 s8, 0x81e3e46f
	s_mov_b32 s9, 0x3e929159
	v_fma_f64 v[18:19], v[2:3], v[9:10], -v[18:19]
	s_delay_alu instid0(VALU_DEP_2) | instskip(NEXT) | instid1(VALU_DEP_2)
	v_rndne_f64_e32 v[20:21], v[20:21]
	v_add_f64 v[18:19], v[18:19], s[8:9]
	s_mov_b32 s8, 0xfefa39ef
	s_mov_b32 s9, 0xbfe62e42
	s_delay_alu instid0(VALU_DEP_2) | instid1(SALU_CYCLE_1)
	v_fma_f64 v[24:25], v[20:21], s[8:9], -v[16:17]
	s_mov_b32 s8, 0x3b39803f
	s_mov_b32 s9, 0xbc7abc9e
	v_cndmask_b32_e64 v16, 0, 0xffffff80, vcc_lo
	v_cmp_class_f64_e64 vcc_lo, v[28:29], 0x260
	s_delay_alu instid0(VALU_DEP_4) | instskip(NEXT) | instid1(VALU_DEP_4)
	v_fma_f64 v[9:10], v[2:3], v[18:19], -v[9:10]
	v_fma_f64 v[24:25], v[20:21], s[8:9], v[24:25]
	s_mov_b32 s8, 0x7f18d3a9
	s_mov_b32 s9, 0xbebebb54
	s_delay_alu instid0(VALU_DEP_2) | instid1(SALU_CYCLE_1)
	v_add_f64 v[9:10], v[9:10], s[8:9]
	s_mov_b32 s8, 0xfca7ab0c
	s_mov_b32 s9, 0x3e928af3
	s_delay_alu instid0(VALU_DEP_2) | instid1(SALU_CYCLE_1)
	v_fma_f64 v[26:27], v[24:25], s[10:11], s[8:9]
	s_mov_b32 s8, 0x623fde64
	s_mov_b32 s9, 0x3ec71dee
	s_delay_alu instid0(VALU_DEP_2) | instskip(NEXT) | instid1(VALU_DEP_2)
	v_fma_f64 v[18:19], v[2:3], v[9:10], -v[18:19]
	v_fma_f64 v[26:27], v[24:25], v[26:27], s[8:9]
	s_mov_b32 s8, 0xcc7470a9
	s_mov_b32 s9, 0x3eed413f
	s_delay_alu instid0(VALU_DEP_2) | instid1(SALU_CYCLE_1)
	v_add_f64 v[18:19], v[18:19], s[8:9]
	s_mov_b32 s8, 0x7c89e6b0
	s_mov_b32 s9, 0x3efa0199
	s_delay_alu instid0(VALU_DEP_2) | instid1(SALU_CYCLE_1)
	v_fma_f64 v[26:27], v[24:25], v[26:27], s[8:9]
	s_mov_b32 s8, 0x14761f6e
	s_mov_b32 s9, 0x3f2a01a0
	s_delay_alu instid0(VALU_DEP_2) | instskip(NEXT) | instid1(VALU_DEP_2)
	;; [unrolled: 13-line block ×4, first 2 shown]
	v_fma_f64 v[9:10], v[2:3], v[18:19], -v[9:10]
	v_fma_f64 v[26:27], v[24:25], v[26:27], s[8:9]
	s_mov_b32 s8, 0x2d4ff71e
	s_mov_b32 s9, 0xbfa019f7
	s_delay_alu instid0(VALU_DEP_2) | instid1(SALU_CYCLE_1)
	v_add_f64 v[9:10], v[9:10], s[8:9]
	s_mov_b32 s8, 11
	s_mov_b32 s9, 0x3fe00000
	s_delay_alu instid0(VALU_DEP_2) | instid1(SALU_CYCLE_1)
	v_fma_f64 v[26:27], v[24:25], v[26:27], s[8:9]
	s_mov_b32 s8, 0x9f4e6907
	s_mov_b32 s9, 0x400385bd
	s_delay_alu instid0(VALU_DEP_2) | instskip(SKIP_2) | instid1(VALU_DEP_4)
	v_fma_f64 v[2:3], v[2:3], v[9:10], -v[18:19]
	v_fma_f64 v[9:10], v[34:35], v[30:31], v[32:33]
	v_cvt_i32_f64_e32 v32, v[20:21]
	v_fma_f64 v[26:27], v[24:25], v[26:27], 1.0
	s_delay_alu instid0(VALU_DEP_4) | instskip(NEXT) | instid1(VALU_DEP_4)
	v_add_f64 v[2:3], v[2:3], s[8:9]
	v_fma_f64 v[20:21], -v[9:10], v[9:10], v[28:29]
	s_delay_alu instid0(VALU_DEP_3) | instskip(NEXT) | instid1(VALU_DEP_3)
	v_fma_f64 v[24:25], v[24:25], v[26:27], 1.0
	v_add_f64 v[2:3], v[2:3], -v[18:19]
	s_delay_alu instid0(VALU_DEP_3) | instskip(NEXT) | instid1(VALU_DEP_3)
	v_fma_f64 v[9:10], v[20:21], v[30:31], v[9:10]
	v_ldexp_f64 v[18:19], v[24:25], v32
	s_delay_alu instid0(VALU_DEP_3) | instskip(NEXT) | instid1(VALU_DEP_3)
	v_mul_f64 v[2:3], v[2:3], 0.5
	v_ldexp_f64 v[9:10], v[9:10], v16
	s_delay_alu instid0(VALU_DEP_3) | instskip(NEXT) | instid1(VALU_DEP_4)
	v_cndmask_b32_e64 v17, 0, v19, s1
	v_cndmask_b32_e64 v16, 0, v18, s1
	s_delay_alu instid0(VALU_DEP_1) | instskip(NEXT) | instid1(VALU_DEP_4)
	v_mul_f64 v[2:3], v[16:17], v[2:3]
	v_dual_cndmask_b32 v10, v10, v29 :: v_dual_cndmask_b32 v9, v9, v28
	s_delay_alu instid0(VALU_DEP_1) | instskip(NEXT) | instid1(VALU_DEP_1)
	v_div_scale_f64 v[16:17], null, v[9:10], v[9:10], v[2:3]
	v_rcp_f64_e32 v[18:19], v[16:17]
	s_waitcnt_depctr 0xfff
	v_fma_f64 v[20:21], -v[16:17], v[18:19], 1.0
	s_delay_alu instid0(VALU_DEP_1) | instskip(NEXT) | instid1(VALU_DEP_1)
	v_fma_f64 v[18:19], v[18:19], v[20:21], v[18:19]
	v_fma_f64 v[20:21], -v[16:17], v[18:19], 1.0
	s_delay_alu instid0(VALU_DEP_1) | instskip(SKIP_1) | instid1(VALU_DEP_1)
	v_fma_f64 v[18:19], v[18:19], v[20:21], v[18:19]
	v_div_scale_f64 v[20:21], vcc_lo, v[2:3], v[9:10], v[2:3]
	v_mul_f64 v[24:25], v[20:21], v[18:19]
	s_delay_alu instid0(VALU_DEP_1) | instskip(NEXT) | instid1(VALU_DEP_1)
	v_fma_f64 v[16:17], -v[16:17], v[24:25], v[20:21]
	v_div_fmas_f64 v[16:17], v[16:17], v[18:19], v[24:25]
	s_delay_alu instid0(VALU_DEP_1)
	v_div_fixup_f64 v[9:10], v[16:17], v[9:10], v[2:3]
.LBB0_47:
	s_or_b32 exec_lo, exec_lo, s6
.LBB0_48:
	s_delay_alu instid0(SALU_CYCLE_1)
	s_or_b32 exec_lo, exec_lo, s5
.LBB0_49:
	s_delay_alu instid0(SALU_CYCLE_1)
	s_or_b32 exec_lo, exec_lo, s4
.LBB0_50:
	s_delay_alu instid0(SALU_CYCLE_1) | instskip(SKIP_2) | instid1(VALU_DEP_1)
	s_or_b32 exec_lo, exec_lo, s3
	v_add_nc_u32_e32 v2, 0x300, v22
	s_mov_b32 s3, exec_lo
	v_cmpx_lt_i32_e64 v2, v4
	s_cbranch_execnz .LBB0_56
; %bb.51:
	s_or_b32 exec_lo, exec_lo, s3
	s_and_saveexec_b32 s1, s0
	s_delay_alu instid0(SALU_CYCLE_1)
	s_xor_b32 s0, exec_lo, s1
	s_cbranch_execnz .LBB0_69
.LBB0_52:
	s_or_b32 exec_lo, exec_lo, s0
	s_delay_alu instid0(SALU_CYCLE_1)
	s_mov_b32 s0, exec_lo
	v_cmpx_lt_i32_e64 v22, v4
	s_cbranch_execnz .LBB0_70
.LBB0_53:
	s_or_b32 exec_lo, exec_lo, s0
	s_delay_alu instid0(SALU_CYCLE_1)
	s_mov_b32 s0, exec_lo
	v_cmpx_lt_i32_e64 v22, v4
	s_cbranch_execnz .LBB0_71
.LBB0_54:
	s_or_b32 exec_lo, exec_lo, s0
	s_delay_alu instid0(SALU_CYCLE_1)
	s_mov_b32 s0, exec_lo
	v_cmpx_lt_i32_e64 v22, v4
	s_cbranch_execnz .LBB0_72
.LBB0_55:
	s_or_b32 exec_lo, exec_lo, s0
	s_waitcnt vmcnt(0) lgkmcnt(0)
	s_setpc_b64 s[30:31]
.LBB0_56:
	v_mov_b32_e32 v11, 0
	v_mov_b32_e32 v12, 0x7ff00000
	s_mov_b32 s4, exec_lo
	s_waitcnt vmcnt(0) lgkmcnt(0)
	v_cmpx_neq_f64_e32 0, v[14:15]
	s_cbranch_execz .LBB0_68
; %bb.57:
	v_mov_b32_e32 v11, 0
	v_mov_b32_e32 v12, 0x7ff80000
	s_mov_b32 s5, exec_lo
	v_cmpx_ngt_f64_e32 0, v[14:15]
	s_cbranch_execz .LBB0_67
; %bb.58:
	s_mov_b32 s1, exec_lo
	v_cmpx_ge_f64_e32 2.0, v[14:15]
	s_xor_b32 s6, exec_lo, s1
	s_cbranch_execz .LBB0_64
; %bb.59:
	v_mul_f64 v[2:3], v[14:15], 0.5
	s_mov_b32 s1, exec_lo
                                        ; implicit-def: $vgpr11_vgpr12
	v_cmpx_ge_f64_e32 0x40200000, v[14:15]
	s_xor_b32 s1, exec_lo, s1
	s_cbranch_execz .LBB0_61
; %bb.60:
	s_delay_alu instid0(VALU_DEP_2)
	v_add_f64 v[11:12], v[2:3], -2.0
	s_mov_b32 s8, 0x977da589
	s_mov_b32 s9, 0x3c833362
	;; [unrolled: 1-line block ×4, first 2 shown]
	v_cmp_nlt_f64_e32 vcc_lo, 0x40900000, v[14:15]
	s_delay_alu instid0(VALU_DEP_2) | instskip(SKIP_3) | instid1(VALU_DEP_1)
	v_fma_f64 v[16:17], v[11:12], s[10:11], s[8:9]
	s_mov_b32 s11, 0x3c545cb7
	s_mov_b32 s8, 0x721ebbb4
	;; [unrolled: 1-line block ×3, first 2 shown]
	v_fma_f64 v[18:19], v[11:12], v[16:17], s[10:11]
	s_mov_b32 s10, 0x6a5dcb37
	s_mov_b32 s11, 0x3e5ade15
	s_delay_alu instid0(VALU_DEP_1) | instskip(SKIP_2) | instid1(VALU_DEP_1)
	v_add_f64 v[18:19], v[18:19], s[8:9]
	s_mov_b32 s8, 0x93f65eba
	s_mov_b32 s9, 0x3cdee6d8
	v_fma_f64 v[16:17], v[11:12], v[18:19], -v[16:17]
	s_delay_alu instid0(VALU_DEP_1) | instskip(SKIP_2) | instid1(VALU_DEP_1)
	v_add_f64 v[16:17], v[16:17], s[8:9]
	s_mov_b32 s8, 0xc297fbeb
	s_mov_b32 s9, 0xbd0a5022
	v_fma_f64 v[18:19], v[11:12], v[16:17], -v[18:19]
	;; [unrolled: 5-line block ×20, first 2 shown]
	s_delay_alu instid0(VALU_DEP_1) | instskip(SKIP_2) | instid1(SALU_CYCLE_1)
	v_add_f64 v[18:19], v[18:19], s[8:9]
	s_mov_b32 s8, 0x652b82fe
	s_mov_b32 s9, 0x3ff71547
	v_mul_f64 v[20:21], v[14:15], s[8:9]
	s_mov_b32 s8, 0xf3dde3dd
	s_mov_b32 s9, 0x3f859961
	s_delay_alu instid0(VALU_DEP_2) | instskip(NEXT) | instid1(VALU_DEP_2)
	v_fma_f64 v[16:17], v[11:12], v[18:19], -v[16:17]
	v_rndne_f64_e32 v[20:21], v[20:21]
	s_delay_alu instid0(VALU_DEP_2)
	v_add_f64 v[16:17], v[16:17], s[8:9]
	s_mov_b32 s8, 0xfefa39ef
	s_mov_b32 s9, 0xbfe62e42
	s_delay_alu instid0(VALU_DEP_2) | instid1(SALU_CYCLE_1)
	v_fma_f64 v[24:25], v[20:21], s[8:9], v[14:15]
	s_mov_b32 s8, 0x3b39803f
	s_mov_b32 s9, 0xbc7abc9e
	s_delay_alu instid0(VALU_DEP_2) | instskip(NEXT) | instid1(VALU_DEP_2)
	v_fma_f64 v[18:19], v[11:12], v[16:17], -v[18:19]
	v_fma_f64 v[24:25], v[20:21], s[8:9], v[24:25]
	s_mov_b32 s8, 0xf121b6f0
	s_mov_b32 s9, 0xbf984e9e
	v_cvt_i32_f64_e32 v20, v[20:21]
	s_delay_alu instid0(VALU_DEP_3)
	v_add_f64 v[18:19], v[18:19], s[8:9]
	s_mov_b32 s8, 0xfca7ab0c
	s_mov_b32 s9, 0x3e928af3
	s_delay_alu instid0(VALU_DEP_3) | instid1(SALU_CYCLE_1)
	v_fma_f64 v[26:27], v[24:25], s[10:11], s[8:9]
	s_mov_b32 s8, 0x623fde64
	s_mov_b32 s9, 0x3ec71dee
	s_delay_alu instid0(VALU_DEP_2) | instskip(NEXT) | instid1(VALU_DEP_2)
	v_fma_f64 v[16:17], v[11:12], v[18:19], -v[16:17]
	v_fma_f64 v[26:27], v[24:25], v[26:27], s[8:9]
	s_mov_b32 s8, 0xcea8a32d
	s_mov_b32 s9, 0x3fa93e8a
	s_delay_alu instid0(VALU_DEP_2) | instid1(SALU_CYCLE_1)
	v_add_f64 v[16:17], v[16:17], s[8:9]
	s_mov_b32 s8, 0x7c89e6b0
	s_mov_b32 s9, 0x3efa0199
	s_delay_alu instid0(VALU_DEP_2) | instid1(SALU_CYCLE_1)
	v_fma_f64 v[26:27], v[24:25], v[26:27], s[8:9]
	s_mov_b32 s8, 0x14761f6e
	s_mov_b32 s9, 0x3f2a01a0
	s_delay_alu instid0(VALU_DEP_2) | instskip(NEXT) | instid1(VALU_DEP_2)
	v_fma_f64 v[18:19], v[11:12], v[16:17], -v[18:19]
	v_fma_f64 v[26:27], v[24:25], v[26:27], s[8:9]
	s_mov_b32 s8, 0x342d06ea
	s_mov_b32 s9, 0xbfb84b70
	s_delay_alu instid0(VALU_DEP_2) | instid1(SALU_CYCLE_1)
	v_add_f64 v[18:19], v[18:19], s[8:9]
	s_mov_b32 s8, 0x1852b7b0
	s_mov_b32 s9, 0x3f56c16c
	s_delay_alu instid0(VALU_DEP_2) | instid1(SALU_CYCLE_1)
	;; [unrolled: 13-line block ×4, first 2 shown]
	v_fma_f64 v[26:27], v[24:25], v[26:27], s[8:9]
	s_mov_b32 s8, 0x9035a22a
	s_mov_b32 s9, 0x3fe5a84e
	s_delay_alu instid0(VALU_DEP_2) | instskip(NEXT) | instid1(VALU_DEP_2)
	v_fma_f64 v[11:12], v[11:12], v[18:19], -v[16:17]
	v_fma_f64 v[18:19], v[24:25], v[26:27], 1.0
	s_delay_alu instid0(VALU_DEP_2) | instskip(NEXT) | instid1(VALU_DEP_2)
	v_add_f64 v[11:12], v[11:12], s[8:9]
	v_fma_f64 v[18:19], v[24:25], v[18:19], 1.0
	s_delay_alu instid0(VALU_DEP_2) | instskip(NEXT) | instid1(VALU_DEP_2)
	v_add_f64 v[11:12], v[11:12], -v[16:17]
	v_ldexp_f64 v[16:17], v[18:19], v20
	s_delay_alu instid0(VALU_DEP_2) | instskip(NEXT) | instid1(VALU_DEP_2)
	v_mul_f64 v[11:12], v[11:12], 0.5
	v_cndmask_b32_e32 v17, 0x7ff00000, v17, vcc_lo
	s_delay_alu instid0(VALU_DEP_3) | instskip(NEXT) | instid1(VALU_DEP_1)
	v_cndmask_b32_e32 v16, 0, v16, vcc_lo
	v_mul_f64 v[11:12], v[16:17], v[11:12]
.LBB0_61:
	s_and_not1_saveexec_b32 s7, s1
	s_cbranch_execz .LBB0_63
; %bb.62:
	v_div_scale_f64 v[11:12], null, v[14:15], v[14:15], 0x40400000
	v_div_scale_f64 v[20:21], vcc_lo, 0x40400000, v[14:15], 0x40400000
	s_mov_b32 s8, 0x66119130
	s_mov_b32 s9, 0xbc5646da
	;; [unrolled: 1-line block ×4, first 2 shown]
	v_cmp_nlt_f64_e64 s1, 0x40900000, v[14:15]
	s_delay_alu instid0(VALU_DEP_3) | instskip(SKIP_2) | instid1(VALU_DEP_1)
	v_rcp_f64_e32 v[16:17], v[11:12]
	s_waitcnt_depctr 0xfff
	v_fma_f64 v[18:19], -v[11:12], v[16:17], 1.0
	v_fma_f64 v[16:17], v[16:17], v[18:19], v[16:17]
	s_delay_alu instid0(VALU_DEP_1) | instskip(NEXT) | instid1(VALU_DEP_1)
	v_fma_f64 v[18:19], -v[11:12], v[16:17], 1.0
	v_fma_f64 v[16:17], v[16:17], v[18:19], v[16:17]
	s_delay_alu instid0(VALU_DEP_1) | instskip(NEXT) | instid1(VALU_DEP_1)
	v_mul_f64 v[18:19], v[20:21], v[16:17]
	v_fma_f64 v[11:12], -v[11:12], v[18:19], v[20:21]
	s_delay_alu instid0(VALU_DEP_1) | instskip(SKIP_1) | instid1(VALU_DEP_2)
	v_div_fmas_f64 v[11:12], v[11:12], v[16:17], v[18:19]
	v_cmp_gt_f64_e32 vcc_lo, 0x10000000, v[14:15]
	v_div_fixup_f64 v[11:12], v[11:12], v[14:15], 0x40400000
	v_cndmask_b32_e64 v28, 0, 1, vcc_lo
	s_delay_alu instid0(VALU_DEP_1) | instskip(NEXT) | instid1(VALU_DEP_1)
	v_lshlrev_b32_e32 v28, 8, v28
	v_ldexp_f64 v[28:29], v[14:15], v28
	s_delay_alu instid0(VALU_DEP_4) | instskip(NEXT) | instid1(VALU_DEP_2)
	v_add_f64 v[11:12], v[11:12], -2.0
	v_rsq_f64_e32 v[30:31], v[28:29]
	s_delay_alu instid0(VALU_DEP_1)
	v_fma_f64 v[16:17], v[11:12], s[10:11], s[8:9]
	s_mov_b32 s11, 0x3c60adb7
	s_mov_b32 s8, 0x12d98421
	;; [unrolled: 1-line block ×3, first 2 shown]
	s_waitcnt_depctr 0xfff
	v_mul_f64 v[32:33], v[28:29], v[30:31]
	v_mul_f64 v[30:31], v[30:31], 0.5
	v_fma_f64 v[18:19], v[11:12], v[16:17], s[10:11]
	s_mov_b32 s10, 0x6a5dcb37
	s_mov_b32 s11, 0x3e5ade15
	s_delay_alu instid0(VALU_DEP_2) | instskip(NEXT) | instid1(VALU_DEP_2)
	v_fma_f64 v[34:35], -v[30:31], v[32:33], 0.5
	v_add_f64 v[18:19], v[18:19], s[8:9]
	s_mov_b32 s8, 0x76041cd
	s_mov_b32 s9, 0x3c83f3dd
	s_delay_alu instid0(VALU_DEP_2) | instskip(SKIP_1) | instid1(VALU_DEP_3)
	v_fma_f64 v[32:33], v[32:33], v[34:35], v[32:33]
	v_fma_f64 v[30:31], v[30:31], v[34:35], v[30:31]
	v_fma_f64 v[16:17], v[11:12], v[18:19], -v[16:17]
	s_delay_alu instid0(VALU_DEP_3) | instskip(NEXT) | instid1(VALU_DEP_2)
	v_fma_f64 v[34:35], -v[32:33], v[32:33], v[28:29]
	v_add_f64 v[16:17], v[16:17], s[8:9]
	s_mov_b32 s8, 0xabd21fe4
	s_mov_b32 s9, 0xbcb4600b
	s_delay_alu instid0(VALU_DEP_1) | instskip(NEXT) | instid1(VALU_DEP_1)
	v_fma_f64 v[18:19], v[11:12], v[16:17], -v[18:19]
	v_add_f64 v[18:19], v[18:19], s[8:9]
	s_mov_b32 s8, 0xd908de38
	s_mov_b32 s9, 0xbcb8aee7
	s_delay_alu instid0(VALU_DEP_1) | instskip(NEXT) | instid1(VALU_DEP_1)
	v_fma_f64 v[16:17], v[11:12], v[18:19], -v[16:17]
	v_add_f64 v[16:17], v[16:17], s[8:9]
	s_mov_b32 s8, 0xa3eafb1f
	s_mov_b32 s9, 0x3cdfee7d
	s_delay_alu instid0(VALU_DEP_1) | instskip(NEXT) | instid1(VALU_DEP_1)
	v_fma_f64 v[18:19], v[11:12], v[16:17], -v[18:19]
	v_add_f64 v[18:19], v[18:19], s[8:9]
	s_mov_b32 s8, 0x9094e6d7
	s_mov_b32 s9, 0x3cf12a91
	s_delay_alu instid0(VALU_DEP_1) | instskip(NEXT) | instid1(VALU_DEP_1)
	v_fma_f64 v[16:17], v[11:12], v[18:19], -v[16:17]
	v_add_f64 v[16:17], v[16:17], s[8:9]
	s_mov_b32 s8, 0x7e65629a
	s_mov_b32 s9, 0xbd0583fe
	s_delay_alu instid0(VALU_DEP_1) | instskip(NEXT) | instid1(VALU_DEP_1)
	v_fma_f64 v[18:19], v[11:12], v[16:17], -v[18:19]
	v_add_f64 v[18:19], v[18:19], s[8:9]
	s_mov_b32 s8, 0xcf68bb32
	s_mov_b32 s9, 0xbd275d99
	s_delay_alu instid0(VALU_DEP_1) | instskip(NEXT) | instid1(VALU_DEP_1)
	v_fma_f64 v[16:17], v[11:12], v[18:19], -v[16:17]
	v_add_f64 v[16:17], v[16:17], s[8:9]
	s_mov_b32 s8, 0xd5fc545
	s_mov_b32 s9, 0x3d1156ff
	s_delay_alu instid0(VALU_DEP_1) | instskip(NEXT) | instid1(VALU_DEP_1)
	v_fma_f64 v[18:19], v[11:12], v[16:17], -v[18:19]
	v_add_f64 v[18:19], v[18:19], s[8:9]
	s_mov_b32 s8, 0x6b83c073
	s_mov_b32 s9, 0x3d5b1c8c
	s_delay_alu instid0(VALU_DEP_1) | instskip(NEXT) | instid1(VALU_DEP_1)
	v_fma_f64 v[16:17], v[11:12], v[18:19], -v[16:17]
	v_add_f64 v[16:17], v[16:17], s[8:9]
	s_mov_b32 s8, 0xfa268cec
	s_mov_b32 s9, 0x3d694347
	s_delay_alu instid0(VALU_DEP_1) | instskip(NEXT) | instid1(VALU_DEP_1)
	v_fma_f64 v[18:19], v[11:12], v[16:17], -v[18:19]
	v_add_f64 v[18:19], v[18:19], s[8:9]
	s_mov_b32 s8, 0x3178d66
	s_mov_b32 s9, 0xbd7f9043
	s_delay_alu instid0(VALU_DEP_1) | instskip(NEXT) | instid1(VALU_DEP_1)
	v_fma_f64 v[16:17], v[11:12], v[18:19], -v[16:17]
	v_add_f64 v[16:17], v[16:17], s[8:9]
	s_mov_b32 s8, 0x357e7bf2
	s_mov_b32 s9, 0xbdad0fd7
	s_delay_alu instid0(VALU_DEP_1) | instskip(NEXT) | instid1(VALU_DEP_1)
	v_fma_f64 v[18:19], v[11:12], v[16:17], -v[18:19]
	v_add_f64 v[18:19], v[18:19], s[8:9]
	s_mov_b32 s8, 0x8397425
	s_mov_b32 s9, 0xbdc1511d
	s_delay_alu instid0(VALU_DEP_1) | instskip(NEXT) | instid1(VALU_DEP_1)
	v_fma_f64 v[16:17], v[11:12], v[18:19], -v[16:17]
	v_add_f64 v[16:17], v[16:17], s[8:9]
	s_mov_b32 s8, 0xabe8004f
	s_mov_b32 s9, 0x3daa24fe
	s_delay_alu instid0(VALU_DEP_1) | instskip(NEXT) | instid1(VALU_DEP_1)
	v_fma_f64 v[18:19], v[11:12], v[16:17], -v[18:19]
	v_add_f64 v[18:19], v[18:19], s[8:9]
	s_mov_b32 s8, 0xc0f46f75
	s_mov_b32 s9, 0x3e00f9cc
	s_delay_alu instid0(VALU_DEP_1) | instskip(NEXT) | instid1(VALU_DEP_1)
	v_fma_f64 v[16:17], v[11:12], v[18:19], -v[16:17]
	v_add_f64 v[16:17], v[16:17], s[8:9]
	s_mov_b32 s8, 0x652b82fe
	s_mov_b32 s9, 0x3ff71547
	s_delay_alu instid0(SALU_CYCLE_1) | instskip(SKIP_2) | instid1(VALU_DEP_2)
	v_mul_f64 v[20:21], v[14:15], s[8:9]
	s_mov_b32 s8, 0xa9225b87
	s_mov_b32 s9, 0x3e2d2c64
	v_fma_f64 v[18:19], v[11:12], v[16:17], -v[18:19]
	s_delay_alu instid0(VALU_DEP_2) | instskip(NEXT) | instid1(VALU_DEP_2)
	v_rndne_f64_e32 v[20:21], v[20:21]
	v_add_f64 v[18:19], v[18:19], s[8:9]
	s_mov_b32 s8, 0xfefa39ef
	s_mov_b32 s9, 0xbfe62e42
	s_delay_alu instid0(VALU_DEP_2) | instid1(SALU_CYCLE_1)
	v_fma_f64 v[24:25], v[20:21], s[8:9], v[14:15]
	s_mov_b32 s8, 0x3b39803f
	s_mov_b32 s9, 0xbc7abc9e
	s_delay_alu instid0(VALU_DEP_2) | instskip(NEXT) | instid1(VALU_DEP_2)
	v_fma_f64 v[16:17], v[11:12], v[18:19], -v[16:17]
	v_fma_f64 v[24:25], v[20:21], s[8:9], v[24:25]
	s_mov_b32 s8, 0x80d6d56d
	s_mov_b32 s9, 0x3e585692
	s_delay_alu instid0(VALU_DEP_2) | instid1(SALU_CYCLE_1)
	v_add_f64 v[16:17], v[16:17], s[8:9]
	s_mov_b32 s8, 0xfca7ab0c
	s_mov_b32 s9, 0x3e928af3
	s_delay_alu instid0(VALU_DEP_2) | instid1(SALU_CYCLE_1)
	v_fma_f64 v[26:27], v[24:25], s[10:11], s[8:9]
	s_mov_b32 s8, 0x623fde64
	s_mov_b32 s9, 0x3ec71dee
	s_delay_alu instid0(VALU_DEP_2) | instskip(NEXT) | instid1(VALU_DEP_2)
	v_fma_f64 v[18:19], v[11:12], v[16:17], -v[18:19]
	v_fma_f64 v[26:27], v[24:25], v[26:27], s[8:9]
	s_mov_b32 s8, 0xd9cd616e
	s_mov_b32 s9, 0x3e8b8007
	s_delay_alu instid0(VALU_DEP_2) | instid1(SALU_CYCLE_1)
	;; [unrolled: 13-line block ×5, first 2 shown]
	v_add_f64 v[16:17], v[16:17], s[8:9]
	s_mov_b32 s8, 11
	s_mov_b32 s9, 0x3fe00000
	s_delay_alu instid0(VALU_DEP_2) | instid1(SALU_CYCLE_1)
	v_fma_f64 v[26:27], v[24:25], v[26:27], s[8:9]
	s_mov_b32 s8, 0xaca809cb
	s_mov_b32 s9, 0x3fe9be62
	s_delay_alu instid0(VALU_DEP_2) | instskip(SKIP_2) | instid1(VALU_DEP_4)
	v_fma_f64 v[11:12], v[11:12], v[16:17], -v[18:19]
	v_fma_f64 v[16:17], v[34:35], v[30:31], v[32:33]
	v_cvt_i32_f64_e32 v32, v[20:21]
	v_fma_f64 v[26:27], v[24:25], v[26:27], 1.0
	s_delay_alu instid0(VALU_DEP_4) | instskip(NEXT) | instid1(VALU_DEP_4)
	v_add_f64 v[11:12], v[11:12], s[8:9]
	v_fma_f64 v[20:21], -v[16:17], v[16:17], v[28:29]
	s_delay_alu instid0(VALU_DEP_3) | instskip(NEXT) | instid1(VALU_DEP_3)
	v_fma_f64 v[24:25], v[24:25], v[26:27], 1.0
	v_add_f64 v[11:12], v[11:12], -v[18:19]
	s_delay_alu instid0(VALU_DEP_3) | instskip(SKIP_4) | instid1(VALU_DEP_4)
	v_fma_f64 v[16:17], v[20:21], v[30:31], v[16:17]
	v_cndmask_b32_e64 v20, 0, 0xffffff80, vcc_lo
	v_cmp_class_f64_e64 vcc_lo, v[28:29], 0x260
	v_ldexp_f64 v[18:19], v[24:25], v32
	v_mul_f64 v[11:12], v[11:12], 0.5
	v_ldexp_f64 v[16:17], v[16:17], v20
	s_delay_alu instid0(VALU_DEP_3) | instskip(NEXT) | instid1(VALU_DEP_4)
	v_cndmask_b32_e64 v19, 0x7ff00000, v19, s1
	v_cndmask_b32_e64 v18, 0, v18, s1
	s_delay_alu instid0(VALU_DEP_1) | instskip(NEXT) | instid1(VALU_DEP_4)
	v_mul_f64 v[11:12], v[18:19], v[11:12]
	v_dual_cndmask_b32 v17, v17, v29 :: v_dual_cndmask_b32 v16, v16, v28
	s_delay_alu instid0(VALU_DEP_1) | instskip(NEXT) | instid1(VALU_DEP_1)
	v_div_scale_f64 v[18:19], null, v[16:17], v[16:17], v[11:12]
	v_rcp_f64_e32 v[20:21], v[18:19]
	s_waitcnt_depctr 0xfff
	v_fma_f64 v[24:25], -v[18:19], v[20:21], 1.0
	s_delay_alu instid0(VALU_DEP_1) | instskip(NEXT) | instid1(VALU_DEP_1)
	v_fma_f64 v[20:21], v[20:21], v[24:25], v[20:21]
	v_fma_f64 v[24:25], -v[18:19], v[20:21], 1.0
	s_delay_alu instid0(VALU_DEP_1) | instskip(SKIP_1) | instid1(VALU_DEP_1)
	v_fma_f64 v[20:21], v[20:21], v[24:25], v[20:21]
	v_div_scale_f64 v[24:25], vcc_lo, v[11:12], v[16:17], v[11:12]
	v_mul_f64 v[26:27], v[24:25], v[20:21]
	s_delay_alu instid0(VALU_DEP_1) | instskip(NEXT) | instid1(VALU_DEP_1)
	v_fma_f64 v[18:19], -v[18:19], v[26:27], v[24:25]
	v_div_fmas_f64 v[18:19], v[18:19], v[20:21], v[26:27]
	s_delay_alu instid0(VALU_DEP_1)
	v_div_fixup_f64 v[11:12], v[18:19], v[16:17], v[11:12]
.LBB0_63:
	s_or_b32 exec_lo, exec_lo, s7
	s_delay_alu instid0(VALU_DEP_2)
	v_frexp_mant_f64_e32 v[16:17], v[2:3]
	s_mov_b32 s9, 0x3fe55555
	s_mov_b32 s8, 0x55555555
	v_mov_b32_e32 v18, 0
	s_mov_b32 s10, 0x6b47b09a
	s_mov_b32 s12, 0xbf559e2b
	;; [unrolled: 1-line block ×4, first 2 shown]
	v_fma_f64 v[14:15], v[14:15], v[14:15], -2.0
	s_delay_alu instid0(VALU_DEP_3) | instskip(SKIP_2) | instid1(VALU_DEP_1)
	v_cmp_gt_f64_e32 vcc_lo, s[8:9], v[16:17]
	s_mov_b32 s8, 0x55555780
	v_cndmask_b32_e64 v19, 0x3ff00000, 2.0, vcc_lo
	v_mul_f64 v[16:17], v[16:17], v[18:19]
	s_delay_alu instid0(VALU_DEP_1) | instskip(SKIP_1) | instid1(VALU_DEP_2)
	v_add_f64 v[18:19], v[16:17], 1.0
	v_add_f64 v[26:27], v[16:17], -1.0
	v_rcp_f64_e32 v[20:21], v[18:19]
	v_add_f64 v[28:29], v[18:19], -1.0
	s_delay_alu instid0(VALU_DEP_1) | instskip(SKIP_2) | instid1(VALU_DEP_1)
	v_add_f64 v[16:17], v[16:17], -v[28:29]
	s_waitcnt_depctr 0xfff
	v_fma_f64 v[24:25], -v[18:19], v[20:21], 1.0
	v_fma_f64 v[20:21], v[24:25], v[20:21], v[20:21]
	s_delay_alu instid0(VALU_DEP_1) | instskip(NEXT) | instid1(VALU_DEP_1)
	v_fma_f64 v[24:25], -v[18:19], v[20:21], 1.0
	v_fma_f64 v[20:21], v[24:25], v[20:21], v[20:21]
	s_delay_alu instid0(VALU_DEP_1) | instskip(NEXT) | instid1(VALU_DEP_1)
	v_mul_f64 v[24:25], v[26:27], v[20:21]
	v_mul_f64 v[30:31], v[18:19], v[24:25]
	s_delay_alu instid0(VALU_DEP_1) | instskip(NEXT) | instid1(VALU_DEP_1)
	v_fma_f64 v[18:19], v[24:25], v[18:19], -v[30:31]
	v_fma_f64 v[16:17], v[24:25], v[16:17], v[18:19]
	s_delay_alu instid0(VALU_DEP_1) | instskip(NEXT) | instid1(VALU_DEP_1)
	v_add_f64 v[18:19], v[30:31], v[16:17]
	v_add_f64 v[28:29], v[26:27], -v[18:19]
	v_add_f64 v[30:31], v[18:19], -v[30:31]
	s_delay_alu instid0(VALU_DEP_2) | instskip(NEXT) | instid1(VALU_DEP_2)
	v_add_f64 v[26:27], v[26:27], -v[28:29]
	v_add_f64 v[16:17], v[30:31], -v[16:17]
	v_frexp_exp_i32_f64_e32 v30, v[2:3]
	s_delay_alu instid0(VALU_DEP_3) | instskip(NEXT) | instid1(VALU_DEP_1)
	v_add_f64 v[18:19], v[26:27], -v[18:19]
	v_add_f64 v[16:17], v[16:17], v[18:19]
	s_delay_alu instid0(VALU_DEP_1) | instskip(NEXT) | instid1(VALU_DEP_1)
	v_add_f64 v[16:17], v[28:29], v[16:17]
	v_mul_f64 v[16:17], v[20:21], v[16:17]
	s_delay_alu instid0(VALU_DEP_1) | instskip(NEXT) | instid1(VALU_DEP_1)
	v_add_f64 v[18:19], v[24:25], v[16:17]
	v_mul_f64 v[20:21], v[18:19], v[18:19]
	s_delay_alu instid0(VALU_DEP_1) | instskip(SKIP_3) | instid1(VALU_DEP_2)
	v_fma_f64 v[26:27], v[20:21], s[12:13], s[10:11]
	s_mov_b32 s10, 0xd7f4df2e
	s_mov_b32 s11, 0x3fc7474d
	v_mul_f64 v[28:29], v[18:19], v[20:21]
	v_fma_f64 v[26:27], v[20:21], v[26:27], s[10:11]
	s_mov_b32 s10, 0x16291751
	s_mov_b32 s11, 0x3fcc71c0
	s_delay_alu instid0(VALU_DEP_1) | instid1(SALU_CYCLE_1)
	v_fma_f64 v[26:27], v[20:21], v[26:27], s[10:11]
	s_mov_b32 s10, 0x9b27acf1
	s_mov_b32 s11, 0x3fd24924
	s_delay_alu instid0(VALU_DEP_1) | instid1(SALU_CYCLE_1)
	;; [unrolled: 4-line block ×3, first 2 shown]
	v_fma_f64 v[26:27], v[20:21], v[26:27], s[10:11]
	s_mov_b32 s11, 0x3ca3cee1
	s_mov_b32 s10, 0xe6a7fd77
	s_delay_alu instid0(VALU_DEP_1) | instskip(SKIP_4) | instid1(VALU_DEP_3)
	v_fma_f64 v[20:21], v[20:21], v[26:27], s[8:9]
	v_ldexp_f64 v[26:27], v[18:19], 1
	v_add_f64 v[18:19], v[18:19], -v[24:25]
	s_mov_b32 s8, 0xc384c2aa
	s_mov_b32 s9, 0x3d27fb0a
	v_mul_f64 v[20:21], v[28:29], v[20:21]
	v_subrev_co_ci_u32_e32 v28, vcc_lo, 0, v30, vcc_lo
	v_fma_f64 v[30:31], v[14:15], s[10:11], s[8:9]
	s_mov_b32 s8, 0xfefa39ef
	s_mov_b32 s9, 0x3fe62e42
	s_delay_alu instid0(VALU_DEP_2) | instskip(SKIP_4) | instid1(VALU_DEP_4)
	v_cvt_f64_i32_e32 v[28:29], v28
	v_add_f64 v[16:17], v[16:17], -v[18:19]
	s_mov_b32 s11, 0xbca3cee1
	v_cmp_eq_f64_e32 vcc_lo, 0x7ff00000, v[2:3]
	v_add_f64 v[24:25], v[26:27], v[20:21]
	v_mul_f64 v[32:33], v[28:29], s[8:9]
	s_delay_alu instid0(VALU_DEP_4) | instskip(NEXT) | instid1(VALU_DEP_3)
	v_ldexp_f64 v[16:17], v[16:17], 1
	v_add_f64 v[18:19], v[24:25], -v[26:27]
	v_fma_f64 v[26:27], v[14:15], v[30:31], s[10:11]
	s_delay_alu instid0(VALU_DEP_4) | instskip(SKIP_2) | instid1(VALU_DEP_3)
	v_fma_f64 v[34:35], v[28:29], s[8:9], -v[32:33]
	s_mov_b32 s8, 0x47512144
	s_mov_b32 s9, 0x3da6c25c
	v_add_f64 v[18:19], v[20:21], -v[18:19]
	s_delay_alu instid0(VALU_DEP_3)
	v_add_f64 v[20:21], v[26:27], s[8:9]
	s_mov_b32 s8, 0x3b39803f
	s_mov_b32 s9, 0x3c7abc9e
	s_delay_alu instid0(VALU_DEP_3) | instid1(SALU_CYCLE_1)
	v_fma_f64 v[26:27], v[28:29], s[8:9], v[34:35]
	s_mov_b32 s8, 0x67e58a13
	s_mov_b32 s9, 0x3e205c13
	s_delay_alu instid0(VALU_DEP_3) | instskip(NEXT) | instid1(VALU_DEP_3)
	v_add_f64 v[16:17], v[16:17], v[18:19]
	v_fma_f64 v[18:19], v[14:15], v[20:21], -v[30:31]
	s_delay_alu instid0(VALU_DEP_3) | instskip(NEXT) | instid1(VALU_DEP_3)
	v_add_f64 v[28:29], v[32:33], v[26:27]
	v_add_f64 v[30:31], v[24:25], v[16:17]
	s_delay_alu instid0(VALU_DEP_3) | instskip(SKIP_2) | instid1(VALU_DEP_3)
	v_add_f64 v[18:19], v[18:19], s[8:9]
	s_mov_b32 s8, 0xe7f95efc
	s_mov_b32 s9, 0x3e9102bc
	v_add_f64 v[32:33], v[28:29], -v[32:33]
	s_delay_alu instid0(VALU_DEP_3) | instskip(NEXT) | instid1(VALU_DEP_3)
	v_add_f64 v[34:35], v[28:29], v[30:31]
	v_fma_f64 v[20:21], v[14:15], v[18:19], -v[20:21]
	v_add_f64 v[24:25], v[30:31], -v[24:25]
	s_delay_alu instid0(VALU_DEP_4) | instskip(NEXT) | instid1(VALU_DEP_4)
	v_add_f64 v[26:27], v[26:27], -v[32:33]
	v_add_f64 v[36:37], v[34:35], -v[28:29]
	s_delay_alu instid0(VALU_DEP_4) | instskip(NEXT) | instid1(VALU_DEP_4)
	v_add_f64 v[20:21], v[20:21], s[8:9]
	v_add_f64 v[16:17], v[16:17], -v[24:25]
	s_mov_b32 s8, 0xfe8cfca0
	s_mov_b32 s9, 0x3ef7f900
	s_delay_alu instid0(VALU_DEP_3) | instskip(NEXT) | instid1(VALU_DEP_3)
	v_add_f64 v[38:39], v[34:35], -v[36:37]
	v_fma_f64 v[18:19], v[14:15], v[20:21], -v[18:19]
	v_add_f64 v[24:25], v[30:31], -v[36:37]
	s_delay_alu instid0(VALU_DEP_4) | instskip(NEXT) | instid1(VALU_DEP_4)
	v_add_f64 v[30:31], v[26:27], v[16:17]
	v_add_f64 v[28:29], v[28:29], -v[38:39]
	s_delay_alu instid0(VALU_DEP_4) | instskip(SKIP_2) | instid1(VALU_DEP_2)
	v_add_f64 v[18:19], v[18:19], s[8:9]
	s_mov_b32 s8, 0x75633d73
	s_mov_b32 s9, 0x3f54b82e
	v_add_f64 v[24:25], v[24:25], v[28:29]
	s_delay_alu instid0(VALU_DEP_2) | instskip(SKIP_1) | instid1(VALU_DEP_3)
	v_fma_f64 v[20:21], v[14:15], v[18:19], -v[20:21]
	v_add_f64 v[28:29], v[30:31], -v[26:27]
	v_add_f64 v[24:25], v[30:31], v[24:25]
	s_delay_alu instid0(VALU_DEP_3) | instskip(NEXT) | instid1(VALU_DEP_3)
	v_add_f64 v[20:21], v[20:21], s[8:9]
	v_add_f64 v[30:31], v[30:31], -v[28:29]
	v_add_f64 v[16:17], v[16:17], -v[28:29]
	s_mov_b32 s8, 0x554a9085
	s_mov_b32 s9, 0x3fa26bf6
	s_delay_alu instid0(VALU_DEP_4) | instskip(NEXT) | instid1(VALU_DEP_4)
	v_add_f64 v[32:33], v[34:35], v[24:25]
	v_fma_f64 v[18:19], v[14:15], v[20:21], -v[18:19]
	s_delay_alu instid0(VALU_DEP_4) | instskip(NEXT) | instid1(VALU_DEP_3)
	v_add_f64 v[26:27], v[26:27], -v[30:31]
	v_add_f64 v[28:29], v[32:33], -v[34:35]
	s_delay_alu instid0(VALU_DEP_3) | instskip(NEXT) | instid1(VALU_DEP_3)
	v_add_f64 v[18:19], v[18:19], s[8:9]
	v_add_f64 v[16:17], v[16:17], v[26:27]
	s_mov_b32 s8, 0x81213db9
	s_mov_b32 s9, 0x3fd608d8
	s_delay_alu instid0(VALU_DEP_3) | instskip(NEXT) | instid1(VALU_DEP_3)
	v_add_f64 v[24:25], v[24:25], -v[28:29]
	v_fma_f64 v[20:21], v[14:15], v[18:19], -v[20:21]
	s_delay_alu instid0(VALU_DEP_2) | instskip(NEXT) | instid1(VALU_DEP_2)
	v_add_f64 v[16:17], v[16:17], v[24:25]
	v_add_f64 v[20:21], v[20:21], s[8:9]
	s_mov_b32 s8, 0xe9d2f61f
	s_mov_b32 s9, 0xbfe12166
	s_delay_alu instid0(VALU_DEP_2) | instskip(NEXT) | instid1(VALU_DEP_2)
	v_add_f64 v[16:17], v[32:33], v[16:17]
	v_fma_f64 v[14:15], v[14:15], v[20:21], -v[18:19]
	s_delay_alu instid0(VALU_DEP_2) | instskip(SKIP_1) | instid1(VALU_DEP_3)
	v_dual_cndmask_b32 v17, v17, v3 :: v_dual_cndmask_b32 v16, v16, v2
	v_cmp_neq_f64_e32 vcc_lo, 0, v[2:3]
	v_add_f64 v[2:3], v[14:15], s[8:9]
	s_delay_alu instid0(VALU_DEP_3) | instskip(NEXT) | instid1(VALU_DEP_4)
	v_cndmask_b32_e32 v15, 0xfff00000, v17, vcc_lo
	v_cndmask_b32_e32 v14, 0, v16, vcc_lo
	s_delay_alu instid0(VALU_DEP_3) | instskip(NEXT) | instid1(VALU_DEP_2)
	v_add_f64 v[2:3], v[2:3], -v[18:19]
	v_mul_f64 v[11:12], v[14:15], v[11:12]
                                        ; implicit-def: $vgpr14_vgpr15
	s_delay_alu instid0(VALU_DEP_1)
	v_fma_f64 v[11:12], v[2:3], 0.5, -v[11:12]
.LBB0_64:
	s_and_not1_saveexec_b32 s6, s6
	s_cbranch_execz .LBB0_66
; %bb.65:
	v_div_scale_f64 v[2:3], null, v[14:15], v[14:15], 0x40200000
	v_div_scale_f64 v[18:19], vcc_lo, 0x40200000, v[14:15], 0x40200000
	s_mov_b32 s8, 0x93812603
	s_mov_b32 s9, 0xbc72fecc
	s_mov_b32 s11, 0x3c5871a5
	s_mov_b32 s10, 0xcf8c9ee1
	v_cmp_nlt_f64_e64 s1, 0x4090cc00, v[14:15]
	s_delay_alu instid0(VALU_DEP_3) | instskip(SKIP_2) | instid1(VALU_DEP_1)
	v_rcp_f64_e32 v[11:12], v[2:3]
	s_waitcnt_depctr 0xfff
	v_fma_f64 v[16:17], -v[2:3], v[11:12], 1.0
	v_fma_f64 v[11:12], v[11:12], v[16:17], v[11:12]
	s_delay_alu instid0(VALU_DEP_1) | instskip(NEXT) | instid1(VALU_DEP_1)
	v_fma_f64 v[16:17], -v[2:3], v[11:12], 1.0
	v_fma_f64 v[11:12], v[11:12], v[16:17], v[11:12]
	s_delay_alu instid0(VALU_DEP_1) | instskip(NEXT) | instid1(VALU_DEP_1)
	v_mul_f64 v[16:17], v[18:19], v[11:12]
	v_fma_f64 v[2:3], -v[2:3], v[16:17], v[18:19]
	s_delay_alu instid0(VALU_DEP_1) | instskip(SKIP_1) | instid1(VALU_DEP_2)
	v_div_fmas_f64 v[2:3], v[2:3], v[11:12], v[16:17]
	v_cmp_gt_f64_e32 vcc_lo, 0x10000000, v[14:15]
	v_div_fixup_f64 v[2:3], v[2:3], v[14:15], 0x40200000
	v_cndmask_b32_e64 v26, 0, 1, vcc_lo
	s_delay_alu instid0(VALU_DEP_1) | instskip(NEXT) | instid1(VALU_DEP_1)
	v_lshlrev_b32_e32 v26, 8, v26
	v_ldexp_f64 v[26:27], v[14:15], v26
	s_delay_alu instid0(VALU_DEP_4) | instskip(NEXT) | instid1(VALU_DEP_2)
	v_add_f64 v[2:3], v[2:3], -2.0
	v_rsq_f64_e32 v[28:29], v[26:27]
	s_delay_alu instid0(VALU_DEP_1)
	v_fma_f64 v[11:12], v[2:3], s[10:11], s[8:9]
	s_mov_b32 s11, 0xbc5871a5
	s_mov_b32 s8, 0x41a8cdf4
	;; [unrolled: 1-line block ×3, first 2 shown]
	s_waitcnt_depctr 0xfff
	v_mul_f64 v[30:31], v[26:27], v[28:29]
	v_mul_f64 v[28:29], v[28:29], 0.5
	v_fma_f64 v[16:17], v[2:3], v[11:12], s[10:11]
	s_mov_b32 s10, 0x6a5dcb37
	s_mov_b32 s11, 0x3e5ade15
	s_delay_alu instid0(VALU_DEP_2) | instskip(NEXT) | instid1(VALU_DEP_2)
	v_fma_f64 v[32:33], -v[28:29], v[30:31], 0.5
	v_add_f64 v[16:17], v[16:17], s[8:9]
	s_mov_b32 s8, 0x74d77641
	s_mov_b32 s9, 0xbca82f94
	s_delay_alu instid0(VALU_DEP_2) | instskip(SKIP_1) | instid1(VALU_DEP_3)
	v_fma_f64 v[30:31], v[30:31], v[32:33], v[30:31]
	v_fma_f64 v[28:29], v[28:29], v[32:33], v[28:29]
	v_fma_f64 v[11:12], v[2:3], v[16:17], -v[11:12]
	s_delay_alu instid0(VALU_DEP_3) | instskip(NEXT) | instid1(VALU_DEP_2)
	v_fma_f64 v[32:33], -v[30:31], v[30:31], v[26:27]
	v_add_f64 v[11:12], v[11:12], s[8:9]
	s_mov_b32 s8, 0x6b94785b
	s_mov_b32 s9, 0x3cc3dbf9
	s_delay_alu instid0(VALU_DEP_1) | instskip(NEXT) | instid1(VALU_DEP_1)
	v_fma_f64 v[16:17], v[2:3], v[11:12], -v[16:17]
	v_add_f64 v[16:17], v[16:17], s[8:9]
	s_mov_b32 s8, 0xecfadd36
	s_mov_b32 s9, 0xbce0a690
	s_delay_alu instid0(VALU_DEP_1) | instskip(NEXT) | instid1(VALU_DEP_1)
	v_fma_f64 v[11:12], v[2:3], v[16:17], -v[11:12]
	;; [unrolled: 5-line block ×14, first 2 shown]
	v_add_f64 v[11:12], v[11:12], s[8:9]
	s_mov_b32 s8, 0x652b82fe
	s_mov_b32 s9, 0xbff71547
	s_delay_alu instid0(SALU_CYCLE_1) | instskip(SKIP_2) | instid1(VALU_DEP_2)
	v_mul_f64 v[18:19], v[14:15], s[8:9]
	s_mov_b32 s8, 0x81e3e46f
	s_mov_b32 s9, 0x3e929159
	v_fma_f64 v[16:17], v[2:3], v[11:12], -v[16:17]
	s_delay_alu instid0(VALU_DEP_2) | instskip(NEXT) | instid1(VALU_DEP_2)
	v_rndne_f64_e32 v[18:19], v[18:19]
	v_add_f64 v[16:17], v[16:17], s[8:9]
	s_mov_b32 s8, 0xfefa39ef
	s_mov_b32 s9, 0xbfe62e42
	s_delay_alu instid0(VALU_DEP_2) | instid1(SALU_CYCLE_1)
	v_fma_f64 v[20:21], v[18:19], s[8:9], -v[14:15]
	s_mov_b32 s8, 0x3b39803f
	s_mov_b32 s9, 0xbc7abc9e
	v_cndmask_b32_e64 v14, 0, 0xffffff80, vcc_lo
	v_cmp_class_f64_e64 vcc_lo, v[26:27], 0x260
	s_delay_alu instid0(VALU_DEP_4) | instskip(NEXT) | instid1(VALU_DEP_4)
	v_fma_f64 v[11:12], v[2:3], v[16:17], -v[11:12]
	v_fma_f64 v[20:21], v[18:19], s[8:9], v[20:21]
	s_mov_b32 s8, 0x7f18d3a9
	s_mov_b32 s9, 0xbebebb54
	s_delay_alu instid0(VALU_DEP_2) | instid1(SALU_CYCLE_1)
	v_add_f64 v[11:12], v[11:12], s[8:9]
	s_mov_b32 s8, 0xfca7ab0c
	s_mov_b32 s9, 0x3e928af3
	s_delay_alu instid0(VALU_DEP_2) | instid1(SALU_CYCLE_1)
	v_fma_f64 v[24:25], v[20:21], s[10:11], s[8:9]
	s_mov_b32 s8, 0x623fde64
	s_mov_b32 s9, 0x3ec71dee
	s_delay_alu instid0(VALU_DEP_2) | instskip(NEXT) | instid1(VALU_DEP_2)
	v_fma_f64 v[16:17], v[2:3], v[11:12], -v[16:17]
	v_fma_f64 v[24:25], v[20:21], v[24:25], s[8:9]
	s_mov_b32 s8, 0xcc7470a9
	s_mov_b32 s9, 0x3eed413f
	s_delay_alu instid0(VALU_DEP_2) | instid1(SALU_CYCLE_1)
	v_add_f64 v[16:17], v[16:17], s[8:9]
	s_mov_b32 s8, 0x7c89e6b0
	s_mov_b32 s9, 0x3efa0199
	s_delay_alu instid0(VALU_DEP_2) | instid1(SALU_CYCLE_1)
	v_fma_f64 v[24:25], v[20:21], v[24:25], s[8:9]
	s_mov_b32 s8, 0x14761f6e
	s_mov_b32 s9, 0x3f2a01a0
	s_delay_alu instid0(VALU_DEP_2) | instskip(NEXT) | instid1(VALU_DEP_2)
	;; [unrolled: 13-line block ×4, first 2 shown]
	v_fma_f64 v[11:12], v[2:3], v[16:17], -v[11:12]
	v_fma_f64 v[24:25], v[20:21], v[24:25], s[8:9]
	s_mov_b32 s8, 0x2d4ff71e
	s_mov_b32 s9, 0xbfa019f7
	s_delay_alu instid0(VALU_DEP_2) | instid1(SALU_CYCLE_1)
	v_add_f64 v[11:12], v[11:12], s[8:9]
	s_mov_b32 s8, 11
	s_mov_b32 s9, 0x3fe00000
	s_delay_alu instid0(VALU_DEP_2) | instid1(SALU_CYCLE_1)
	v_fma_f64 v[24:25], v[20:21], v[24:25], s[8:9]
	s_mov_b32 s8, 0x9f4e6907
	s_mov_b32 s9, 0x400385bd
	s_delay_alu instid0(VALU_DEP_2) | instskip(SKIP_2) | instid1(VALU_DEP_4)
	v_fma_f64 v[2:3], v[2:3], v[11:12], -v[16:17]
	v_fma_f64 v[11:12], v[32:33], v[28:29], v[30:31]
	v_cvt_i32_f64_e32 v30, v[18:19]
	v_fma_f64 v[24:25], v[20:21], v[24:25], 1.0
	s_delay_alu instid0(VALU_DEP_4) | instskip(NEXT) | instid1(VALU_DEP_4)
	v_add_f64 v[2:3], v[2:3], s[8:9]
	v_fma_f64 v[18:19], -v[11:12], v[11:12], v[26:27]
	s_delay_alu instid0(VALU_DEP_3) | instskip(NEXT) | instid1(VALU_DEP_3)
	v_fma_f64 v[20:21], v[20:21], v[24:25], 1.0
	v_add_f64 v[2:3], v[2:3], -v[16:17]
	s_delay_alu instid0(VALU_DEP_3) | instskip(NEXT) | instid1(VALU_DEP_3)
	v_fma_f64 v[11:12], v[18:19], v[28:29], v[11:12]
	v_ldexp_f64 v[16:17], v[20:21], v30
	s_delay_alu instid0(VALU_DEP_3) | instskip(NEXT) | instid1(VALU_DEP_3)
	v_mul_f64 v[2:3], v[2:3], 0.5
	v_ldexp_f64 v[11:12], v[11:12], v14
	s_delay_alu instid0(VALU_DEP_3) | instskip(NEXT) | instid1(VALU_DEP_4)
	v_cndmask_b32_e64 v15, 0, v17, s1
	v_cndmask_b32_e64 v14, 0, v16, s1
	s_delay_alu instid0(VALU_DEP_1) | instskip(NEXT) | instid1(VALU_DEP_4)
	v_mul_f64 v[2:3], v[14:15], v[2:3]
	v_dual_cndmask_b32 v12, v12, v27 :: v_dual_cndmask_b32 v11, v11, v26
	s_delay_alu instid0(VALU_DEP_1) | instskip(NEXT) | instid1(VALU_DEP_1)
	v_div_scale_f64 v[14:15], null, v[11:12], v[11:12], v[2:3]
	v_rcp_f64_e32 v[16:17], v[14:15]
	s_waitcnt_depctr 0xfff
	v_fma_f64 v[18:19], -v[14:15], v[16:17], 1.0
	s_delay_alu instid0(VALU_DEP_1) | instskip(NEXT) | instid1(VALU_DEP_1)
	v_fma_f64 v[16:17], v[16:17], v[18:19], v[16:17]
	v_fma_f64 v[18:19], -v[14:15], v[16:17], 1.0
	s_delay_alu instid0(VALU_DEP_1) | instskip(SKIP_1) | instid1(VALU_DEP_1)
	v_fma_f64 v[16:17], v[16:17], v[18:19], v[16:17]
	v_div_scale_f64 v[18:19], vcc_lo, v[2:3], v[11:12], v[2:3]
	v_mul_f64 v[20:21], v[18:19], v[16:17]
	s_delay_alu instid0(VALU_DEP_1) | instskip(NEXT) | instid1(VALU_DEP_1)
	v_fma_f64 v[14:15], -v[14:15], v[20:21], v[18:19]
	v_div_fmas_f64 v[14:15], v[14:15], v[16:17], v[20:21]
	s_delay_alu instid0(VALU_DEP_1)
	v_div_fixup_f64 v[11:12], v[14:15], v[11:12], v[2:3]
.LBB0_66:
	s_or_b32 exec_lo, exec_lo, s6
.LBB0_67:
	s_delay_alu instid0(SALU_CYCLE_1)
	s_or_b32 exec_lo, exec_lo, s5
.LBB0_68:
	s_delay_alu instid0(SALU_CYCLE_1) | instskip(NEXT) | instid1(SALU_CYCLE_1)
	s_or_b32 exec_lo, exec_lo, s4
	s_or_b32 exec_lo, exec_lo, s3
	s_and_saveexec_b32 s1, s0
	s_delay_alu instid0(SALU_CYCLE_1)
	s_xor_b32 s0, exec_lo, s1
	s_cbranch_execz .LBB0_52
.LBB0_69:
	s_waitcnt vmcnt(0) lgkmcnt(0)
	v_mov_b32_e32 v14, 0
	v_mov_b32_e32 v22, v23
	s_delay_alu instid0(VALU_DEP_2) | instskip(NEXT) | instid1(VALU_DEP_1)
	v_lshlrev_b64 v[2:3], 3, v[13:14]
	v_add_co_u32 v2, vcc_lo, v0, v2
	s_delay_alu instid0(VALU_DEP_2) | instskip(SKIP_2) | instid1(SALU_CYCLE_1)
	v_add_co_ci_u32_e32 v3, vcc_lo, v1, v3, vcc_lo
	flat_store_b64 v[2:3], v[5:6]
	s_or_b32 exec_lo, exec_lo, s0
	s_mov_b32 s0, exec_lo
	v_cmpx_lt_i32_e64 v22, v4
	s_cbranch_execz .LBB0_53
.LBB0_70:
	v_dual_mov_b32 v3, 0 :: v_dual_add_nc_u32 v2, s2, v22
	v_add_nc_u32_e32 v22, 0x100, v22
	s_delay_alu instid0(VALU_DEP_2) | instskip(NEXT) | instid1(VALU_DEP_1)
	v_lshlrev_b64 v[2:3], 3, v[2:3]
	v_add_co_u32 v2, vcc_lo, v0, v2
	s_delay_alu instid0(VALU_DEP_2) | instskip(SKIP_2) | instid1(SALU_CYCLE_1)
	v_add_co_ci_u32_e32 v3, vcc_lo, v1, v3, vcc_lo
	flat_store_b64 v[2:3], v[7:8]
	s_or_b32 exec_lo, exec_lo, s0
	s_mov_b32 s0, exec_lo
	v_cmpx_lt_i32_e64 v22, v4
	s_cbranch_execz .LBB0_54
.LBB0_71:
	v_dual_mov_b32 v3, 0 :: v_dual_add_nc_u32 v2, s2, v22
	v_add_nc_u32_e32 v22, 0x100, v22
	s_delay_alu instid0(VALU_DEP_2) | instskip(NEXT) | instid1(VALU_DEP_1)
	v_lshlrev_b64 v[2:3], 3, v[2:3]
	v_add_co_u32 v2, vcc_lo, v0, v2
	s_delay_alu instid0(VALU_DEP_2) | instskip(SKIP_2) | instid1(SALU_CYCLE_1)
	v_add_co_ci_u32_e32 v3, vcc_lo, v1, v3, vcc_lo
	flat_store_b64 v[2:3], v[9:10]
	s_or_b32 exec_lo, exec_lo, s0
	s_mov_b32 s0, exec_lo
	v_cmpx_lt_i32_e64 v22, v4
	s_cbranch_execz .LBB0_55
.LBB0_72:
	v_dual_mov_b32 v3, 0 :: v_dual_add_nc_u32 v2, s2, v22
	s_delay_alu instid0(VALU_DEP_1) | instskip(NEXT) | instid1(VALU_DEP_1)
	v_lshlrev_b64 v[2:3], 3, v[2:3]
	v_add_co_u32 v0, vcc_lo, v0, v2
	s_delay_alu instid0(VALU_DEP_2)
	v_add_co_ci_u32_e32 v1, vcc_lo, v1, v3, vcc_lo
	flat_store_b64 v[0:1], v[11:12]
	s_or_b32 exec_lo, exec_lo, s0
	s_waitcnt vmcnt(0) lgkmcnt(0)
	s_setpc_b64 s[30:31]
.Lfunc_end0:
	.size	_ZN2at6native25elementwise_kernel_helperILb0EZZZNS0_12_GLOBAL__N_130modified_bessel_k0_kernel_cudaERNS_18TensorIteratorBaseEENKUlvE_clEvENKUlvE_clEvEUldE_NS0_6memory8policies11unroll_baseILi256ESt5arrayIPcLm2EE23TrivialOffsetCalculatorILi1EjESF_NS8_15LoadWithoutCastENS8_16StoreWithoutCastELi4ELi1EEEEEvT0_T1_, .Lfunc_end0-_ZN2at6native25elementwise_kernel_helperILb0EZZZNS0_12_GLOBAL__N_130modified_bessel_k0_kernel_cudaERNS_18TensorIteratorBaseEENKUlvE_clEvENKUlvE_clEvEUldE_NS0_6memory8policies11unroll_baseILi256ESt5arrayIPcLm2EE23TrivialOffsetCalculatorILi1EjESF_NS8_15LoadWithoutCastENS8_16StoreWithoutCastELi4ELi1EEEEEvT0_T1_
                                        ; -- End function
	.section	.AMDGPU.csdata,"",@progbits
; Function info:
; codeLenInByte = 26404
; NumSgprs: 34
; NumVgprs: 52
; ScratchSize: 0
; MemoryBound: 0
	.text
	.p2align	2                               ; -- Begin function _ZN2at6native25elementwise_kernel_helperILb0EZZZNS0_12_GLOBAL__N_130modified_bessel_k0_kernel_cudaERNS_18TensorIteratorBaseEENKUlvE_clEvENKUlvE_clEvEUldE_NS0_6memory8policies10vectorizedILi4ESt5arrayIPcLm2EELi4EEEEEvT0_T1_
	.type	_ZN2at6native25elementwise_kernel_helperILb0EZZZNS0_12_GLOBAL__N_130modified_bessel_k0_kernel_cudaERNS_18TensorIteratorBaseEENKUlvE_clEvENKUlvE_clEvEUldE_NS0_6memory8policies10vectorizedILi4ESt5arrayIPcLm2EELi4EEEEEvT0_T1_,@function
_ZN2at6native25elementwise_kernel_helperILb0EZZZNS0_12_GLOBAL__N_130modified_bessel_k0_kernel_cudaERNS_18TensorIteratorBaseEENKUlvE_clEvENKUlvE_clEvEUldE_NS0_6memory8policies10vectorizedILi4ESt5arrayIPcLm2EELi4EEEEEvT0_T1_: ; @_ZN2at6native25elementwise_kernel_helperILb0EZZZNS0_12_GLOBAL__N_130modified_bessel_k0_kernel_cudaERNS_18TensorIteratorBaseEENKUlvE_clEvENKUlvE_clEvEUldE_NS0_6memory8policies10vectorizedILi4ESt5arrayIPcLm2EELi4EEEEEvT0_T1_
; %bb.0:
	s_waitcnt vmcnt(0) expcnt(0) lgkmcnt(0)
	s_lshl_b32 s0, s12, 10
	v_and_b32_e32 v4, 0x3ff, v31
	s_ashr_i32 s1, s0, 31
	s_delay_alu instid0(SALU_CYCLE_1) | instskip(SKIP_1) | instid1(VALU_DEP_1)
	s_lshl_b64 s[2:3], s[0:1], 3
	s_mov_b32 s1, exec_lo
	v_lshlrev_b32_e32 v16, 5, v4
	v_add_co_u32 v2, vcc_lo, v2, s2
	v_add_co_ci_u32_e32 v3, vcc_lo, s3, v3, vcc_lo
	v_mov_b32_e32 v4, 0
	v_mov_b32_e32 v5, 0x7ff00000
	s_delay_alu instid0(VALU_DEP_4) | instskip(NEXT) | instid1(VALU_DEP_4)
	v_add_co_u32 v2, vcc_lo, v2, v16
	v_add_co_ci_u32_e32 v3, vcc_lo, 0, v3, vcc_lo
	s_clause 0x1
	flat_load_b128 v[10:13], v[2:3]
	flat_load_b128 v[6:9], v[2:3] offset:16
	v_dual_mov_b32 v2, v4 :: v_dual_mov_b32 v3, v5
	s_waitcnt vmcnt(1) lgkmcnt(1)
	v_cmpx_neq_f64_e32 0, v[10:11]
	s_cbranch_execz .LBB1_12
; %bb.1:
	v_mov_b32_e32 v2, 0
	v_mov_b32_e32 v3, 0x7ff80000
	s_mov_b32 s4, exec_lo
	v_cmpx_ngt_f64_e32 0, v[10:11]
	s_cbranch_execz .LBB1_11
; %bb.2:
	s_mov_b32 s0, exec_lo
	v_cmpx_ge_f64_e32 2.0, v[10:11]
	s_xor_b32 s5, exec_lo, s0
	s_cbranch_execz .LBB1_8
; %bb.3:
	v_mul_f64 v[2:3], v[10:11], 0.5
	s_mov_b32 s0, exec_lo
                                        ; implicit-def: $vgpr14_vgpr15
	v_cmpx_ge_f64_e32 0x40200000, v[10:11]
	s_xor_b32 s0, exec_lo, s0
	s_cbranch_execz .LBB1_5
; %bb.4:
	s_delay_alu instid0(VALU_DEP_2)
	v_add_f64 v[14:15], v[2:3], -2.0
	s_mov_b32 s6, 0x977da589
	s_mov_b32 s7, 0x3c833362
	;; [unrolled: 1-line block ×4, first 2 shown]
	v_cmp_nlt_f64_e32 vcc_lo, 0x40900000, v[10:11]
	s_delay_alu instid0(VALU_DEP_2) | instskip(SKIP_3) | instid1(VALU_DEP_1)
	v_fma_f64 v[17:18], v[14:15], s[8:9], s[6:7]
	s_mov_b32 s9, 0x3c545cb7
	s_mov_b32 s6, 0x721ebbb4
	;; [unrolled: 1-line block ×3, first 2 shown]
	v_fma_f64 v[19:20], v[14:15], v[17:18], s[8:9]
	s_mov_b32 s8, 0x6a5dcb37
	s_mov_b32 s9, 0x3e5ade15
	s_delay_alu instid0(VALU_DEP_1) | instskip(SKIP_2) | instid1(VALU_DEP_1)
	v_add_f64 v[19:20], v[19:20], s[6:7]
	s_mov_b32 s6, 0x93f65eba
	s_mov_b32 s7, 0x3cdee6d8
	v_fma_f64 v[17:18], v[14:15], v[19:20], -v[17:18]
	s_delay_alu instid0(VALU_DEP_1) | instskip(SKIP_2) | instid1(VALU_DEP_1)
	v_add_f64 v[17:18], v[17:18], s[6:7]
	s_mov_b32 s6, 0xc297fbeb
	s_mov_b32 s7, 0xbd0a5022
	v_fma_f64 v[19:20], v[14:15], v[17:18], -v[19:20]
	;; [unrolled: 5-line block ×20, first 2 shown]
	s_delay_alu instid0(VALU_DEP_1) | instskip(SKIP_2) | instid1(SALU_CYCLE_1)
	v_add_f64 v[19:20], v[19:20], s[6:7]
	s_mov_b32 s6, 0x652b82fe
	s_mov_b32 s7, 0x3ff71547
	v_mul_f64 v[21:22], v[10:11], s[6:7]
	s_mov_b32 s6, 0xf3dde3dd
	s_mov_b32 s7, 0x3f859961
	s_delay_alu instid0(VALU_DEP_2) | instskip(NEXT) | instid1(VALU_DEP_2)
	v_fma_f64 v[17:18], v[14:15], v[19:20], -v[17:18]
	v_rndne_f64_e32 v[21:22], v[21:22]
	s_delay_alu instid0(VALU_DEP_2)
	v_add_f64 v[17:18], v[17:18], s[6:7]
	s_mov_b32 s6, 0xfefa39ef
	s_mov_b32 s7, 0xbfe62e42
	s_delay_alu instid0(VALU_DEP_2) | instid1(SALU_CYCLE_1)
	v_fma_f64 v[23:24], v[21:22], s[6:7], v[10:11]
	s_mov_b32 s6, 0x3b39803f
	s_mov_b32 s7, 0xbc7abc9e
	s_delay_alu instid0(VALU_DEP_2) | instskip(NEXT) | instid1(VALU_DEP_2)
	v_fma_f64 v[19:20], v[14:15], v[17:18], -v[19:20]
	v_fma_f64 v[23:24], v[21:22], s[6:7], v[23:24]
	s_mov_b32 s6, 0xf121b6f0
	s_mov_b32 s7, 0xbf984e9e
	v_cvt_i32_f64_e32 v21, v[21:22]
	s_delay_alu instid0(VALU_DEP_3)
	v_add_f64 v[19:20], v[19:20], s[6:7]
	s_mov_b32 s6, 0xfca7ab0c
	s_mov_b32 s7, 0x3e928af3
	s_delay_alu instid0(VALU_DEP_3) | instid1(SALU_CYCLE_1)
	v_fma_f64 v[25:26], v[23:24], s[8:9], s[6:7]
	s_mov_b32 s6, 0x623fde64
	s_mov_b32 s7, 0x3ec71dee
	s_delay_alu instid0(VALU_DEP_2) | instskip(NEXT) | instid1(VALU_DEP_2)
	v_fma_f64 v[17:18], v[14:15], v[19:20], -v[17:18]
	v_fma_f64 v[25:26], v[23:24], v[25:26], s[6:7]
	s_mov_b32 s6, 0xcea8a32d
	s_mov_b32 s7, 0x3fa93e8a
	s_delay_alu instid0(VALU_DEP_2) | instid1(SALU_CYCLE_1)
	v_add_f64 v[17:18], v[17:18], s[6:7]
	s_mov_b32 s6, 0x7c89e6b0
	s_mov_b32 s7, 0x3efa0199
	s_delay_alu instid0(VALU_DEP_2) | instid1(SALU_CYCLE_1)
	v_fma_f64 v[25:26], v[23:24], v[25:26], s[6:7]
	s_mov_b32 s6, 0x14761f6e
	s_mov_b32 s7, 0x3f2a01a0
	s_delay_alu instid0(VALU_DEP_2) | instskip(NEXT) | instid1(VALU_DEP_2)
	v_fma_f64 v[19:20], v[14:15], v[17:18], -v[19:20]
	v_fma_f64 v[25:26], v[23:24], v[25:26], s[6:7]
	s_mov_b32 s6, 0x342d06ea
	s_mov_b32 s7, 0xbfb84b70
	s_delay_alu instid0(VALU_DEP_2) | instid1(SALU_CYCLE_1)
	v_add_f64 v[19:20], v[19:20], s[6:7]
	s_mov_b32 s6, 0x1852b7b0
	s_mov_b32 s7, 0x3f56c16c
	s_delay_alu instid0(VALU_DEP_2) | instid1(SALU_CYCLE_1)
	;; [unrolled: 13-line block ×4, first 2 shown]
	v_fma_f64 v[25:26], v[23:24], v[25:26], s[6:7]
	s_mov_b32 s6, 0x9035a22a
	s_mov_b32 s7, 0x3fe5a84e
	s_delay_alu instid0(VALU_DEP_2) | instskip(NEXT) | instid1(VALU_DEP_2)
	v_fma_f64 v[14:15], v[14:15], v[19:20], -v[17:18]
	v_fma_f64 v[19:20], v[23:24], v[25:26], 1.0
	s_delay_alu instid0(VALU_DEP_2) | instskip(NEXT) | instid1(VALU_DEP_2)
	v_add_f64 v[14:15], v[14:15], s[6:7]
	v_fma_f64 v[19:20], v[23:24], v[19:20], 1.0
	s_delay_alu instid0(VALU_DEP_2) | instskip(NEXT) | instid1(VALU_DEP_2)
	v_add_f64 v[14:15], v[14:15], -v[17:18]
	v_ldexp_f64 v[17:18], v[19:20], v21
	s_delay_alu instid0(VALU_DEP_2) | instskip(NEXT) | instid1(VALU_DEP_2)
	v_mul_f64 v[14:15], v[14:15], 0.5
	v_cndmask_b32_e32 v18, 0x7ff00000, v18, vcc_lo
	s_delay_alu instid0(VALU_DEP_3) | instskip(NEXT) | instid1(VALU_DEP_1)
	v_cndmask_b32_e32 v17, 0, v17, vcc_lo
	v_mul_f64 v[14:15], v[17:18], v[14:15]
.LBB1_5:
	s_and_not1_saveexec_b32 s6, s0
	s_cbranch_execz .LBB1_7
; %bb.6:
	v_div_scale_f64 v[14:15], null, v[10:11], v[10:11], 0x40400000
	v_div_scale_f64 v[21:22], vcc_lo, 0x40400000, v[10:11], 0x40400000
	s_mov_b32 s8, 0x66119130
	s_mov_b32 s9, 0xbc5646da
	;; [unrolled: 1-line block ×4, first 2 shown]
	v_cmp_nlt_f64_e64 s0, 0x40900000, v[10:11]
	s_delay_alu instid0(VALU_DEP_3) | instskip(SKIP_2) | instid1(VALU_DEP_1)
	v_rcp_f64_e32 v[17:18], v[14:15]
	s_waitcnt_depctr 0xfff
	v_fma_f64 v[19:20], -v[14:15], v[17:18], 1.0
	v_fma_f64 v[17:18], v[17:18], v[19:20], v[17:18]
	s_delay_alu instid0(VALU_DEP_1) | instskip(NEXT) | instid1(VALU_DEP_1)
	v_fma_f64 v[19:20], -v[14:15], v[17:18], 1.0
	v_fma_f64 v[17:18], v[17:18], v[19:20], v[17:18]
	s_delay_alu instid0(VALU_DEP_1) | instskip(NEXT) | instid1(VALU_DEP_1)
	v_mul_f64 v[19:20], v[21:22], v[17:18]
	v_fma_f64 v[14:15], -v[14:15], v[19:20], v[21:22]
	s_delay_alu instid0(VALU_DEP_1) | instskip(SKIP_1) | instid1(VALU_DEP_2)
	v_div_fmas_f64 v[14:15], v[14:15], v[17:18], v[19:20]
	v_cmp_gt_f64_e32 vcc_lo, 0x10000000, v[10:11]
	v_div_fixup_f64 v[14:15], v[14:15], v[10:11], 0x40400000
	v_cndmask_b32_e64 v27, 0, 1, vcc_lo
	s_delay_alu instid0(VALU_DEP_1) | instskip(NEXT) | instid1(VALU_DEP_1)
	v_lshlrev_b32_e32 v27, 8, v27
	v_ldexp_f64 v[27:28], v[10:11], v27
	s_delay_alu instid0(VALU_DEP_4) | instskip(NEXT) | instid1(VALU_DEP_2)
	v_add_f64 v[14:15], v[14:15], -2.0
	v_rsq_f64_e32 v[29:30], v[27:28]
	s_delay_alu instid0(VALU_DEP_1)
	v_fma_f64 v[17:18], v[14:15], s[10:11], s[8:9]
	s_mov_b32 s11, 0x3c60adb7
	s_mov_b32 s8, 0x12d98421
	;; [unrolled: 1-line block ×3, first 2 shown]
	s_waitcnt_depctr 0xfff
	v_mul_f64 v[31:32], v[27:28], v[29:30]
	v_mul_f64 v[29:30], v[29:30], 0.5
	v_fma_f64 v[19:20], v[14:15], v[17:18], s[10:11]
	s_mov_b32 s10, 0x6a5dcb37
	s_mov_b32 s11, 0x3e5ade15
	s_delay_alu instid0(VALU_DEP_2) | instskip(NEXT) | instid1(VALU_DEP_2)
	v_fma_f64 v[33:34], -v[29:30], v[31:32], 0.5
	v_add_f64 v[19:20], v[19:20], s[8:9]
	s_mov_b32 s8, 0x76041cd
	s_mov_b32 s9, 0x3c83f3dd
	s_delay_alu instid0(VALU_DEP_2) | instskip(SKIP_1) | instid1(VALU_DEP_3)
	v_fma_f64 v[31:32], v[31:32], v[33:34], v[31:32]
	v_fma_f64 v[29:30], v[29:30], v[33:34], v[29:30]
	v_fma_f64 v[17:18], v[14:15], v[19:20], -v[17:18]
	s_delay_alu instid0(VALU_DEP_3) | instskip(NEXT) | instid1(VALU_DEP_2)
	v_fma_f64 v[33:34], -v[31:32], v[31:32], v[27:28]
	v_add_f64 v[17:18], v[17:18], s[8:9]
	s_mov_b32 s8, 0xabd21fe4
	s_mov_b32 s9, 0xbcb4600b
	s_delay_alu instid0(VALU_DEP_1) | instskip(NEXT) | instid1(VALU_DEP_1)
	v_fma_f64 v[19:20], v[14:15], v[17:18], -v[19:20]
	v_add_f64 v[19:20], v[19:20], s[8:9]
	s_mov_b32 s8, 0xd908de38
	s_mov_b32 s9, 0xbcb8aee7
	s_delay_alu instid0(VALU_DEP_1) | instskip(NEXT) | instid1(VALU_DEP_1)
	v_fma_f64 v[17:18], v[14:15], v[19:20], -v[17:18]
	;; [unrolled: 5-line block ×14, first 2 shown]
	v_add_f64 v[17:18], v[17:18], s[8:9]
	s_mov_b32 s8, 0x652b82fe
	s_mov_b32 s9, 0x3ff71547
	s_delay_alu instid0(SALU_CYCLE_1) | instskip(SKIP_2) | instid1(VALU_DEP_2)
	v_mul_f64 v[21:22], v[10:11], s[8:9]
	s_mov_b32 s8, 0xa9225b87
	s_mov_b32 s9, 0x3e2d2c64
	v_fma_f64 v[19:20], v[14:15], v[17:18], -v[19:20]
	s_delay_alu instid0(VALU_DEP_2) | instskip(NEXT) | instid1(VALU_DEP_2)
	v_rndne_f64_e32 v[21:22], v[21:22]
	v_add_f64 v[19:20], v[19:20], s[8:9]
	s_mov_b32 s8, 0xfefa39ef
	s_mov_b32 s9, 0xbfe62e42
	s_delay_alu instid0(VALU_DEP_2) | instid1(SALU_CYCLE_1)
	v_fma_f64 v[23:24], v[21:22], s[8:9], v[10:11]
	s_mov_b32 s8, 0x3b39803f
	s_mov_b32 s9, 0xbc7abc9e
	s_delay_alu instid0(VALU_DEP_2) | instskip(NEXT) | instid1(VALU_DEP_2)
	v_fma_f64 v[17:18], v[14:15], v[19:20], -v[17:18]
	v_fma_f64 v[23:24], v[21:22], s[8:9], v[23:24]
	s_mov_b32 s8, 0x80d6d56d
	s_mov_b32 s9, 0x3e585692
	s_delay_alu instid0(VALU_DEP_2) | instid1(SALU_CYCLE_1)
	v_add_f64 v[17:18], v[17:18], s[8:9]
	s_mov_b32 s8, 0xfca7ab0c
	s_mov_b32 s9, 0x3e928af3
	s_delay_alu instid0(VALU_DEP_2) | instid1(SALU_CYCLE_1)
	v_fma_f64 v[25:26], v[23:24], s[10:11], s[8:9]
	s_mov_b32 s8, 0x623fde64
	s_mov_b32 s9, 0x3ec71dee
	s_delay_alu instid0(VALU_DEP_2) | instskip(NEXT) | instid1(VALU_DEP_2)
	v_fma_f64 v[19:20], v[14:15], v[17:18], -v[19:20]
	v_fma_f64 v[25:26], v[23:24], v[25:26], s[8:9]
	s_mov_b32 s8, 0xd9cd616e
	s_mov_b32 s9, 0x3e8b8007
	s_delay_alu instid0(VALU_DEP_2) | instid1(SALU_CYCLE_1)
	;; [unrolled: 13-line block ×5, first 2 shown]
	v_add_f64 v[17:18], v[17:18], s[8:9]
	s_mov_b32 s8, 11
	s_mov_b32 s9, 0x3fe00000
	s_delay_alu instid0(VALU_DEP_2) | instid1(SALU_CYCLE_1)
	v_fma_f64 v[25:26], v[23:24], v[25:26], s[8:9]
	s_mov_b32 s8, 0xaca809cb
	s_mov_b32 s9, 0x3fe9be62
	s_delay_alu instid0(VALU_DEP_2) | instskip(SKIP_2) | instid1(VALU_DEP_4)
	v_fma_f64 v[14:15], v[14:15], v[17:18], -v[19:20]
	v_fma_f64 v[17:18], v[33:34], v[29:30], v[31:32]
	v_cvt_i32_f64_e32 v31, v[21:22]
	v_fma_f64 v[25:26], v[23:24], v[25:26], 1.0
	s_delay_alu instid0(VALU_DEP_4) | instskip(NEXT) | instid1(VALU_DEP_4)
	v_add_f64 v[14:15], v[14:15], s[8:9]
	v_fma_f64 v[21:22], -v[17:18], v[17:18], v[27:28]
	s_delay_alu instid0(VALU_DEP_3) | instskip(NEXT) | instid1(VALU_DEP_3)
	v_fma_f64 v[23:24], v[23:24], v[25:26], 1.0
	v_add_f64 v[14:15], v[14:15], -v[19:20]
	s_delay_alu instid0(VALU_DEP_3) | instskip(SKIP_4) | instid1(VALU_DEP_4)
	v_fma_f64 v[17:18], v[21:22], v[29:30], v[17:18]
	v_cndmask_b32_e64 v21, 0, 0xffffff80, vcc_lo
	v_cmp_class_f64_e64 vcc_lo, v[27:28], 0x260
	v_ldexp_f64 v[19:20], v[23:24], v31
	v_mul_f64 v[14:15], v[14:15], 0.5
	v_ldexp_f64 v[17:18], v[17:18], v21
	s_delay_alu instid0(VALU_DEP_3) | instskip(NEXT) | instid1(VALU_DEP_4)
	v_cndmask_b32_e64 v20, 0x7ff00000, v20, s0
	v_cndmask_b32_e64 v19, 0, v19, s0
	s_delay_alu instid0(VALU_DEP_1) | instskip(NEXT) | instid1(VALU_DEP_4)
	v_mul_f64 v[14:15], v[19:20], v[14:15]
	v_dual_cndmask_b32 v18, v18, v28 :: v_dual_cndmask_b32 v17, v17, v27
	s_delay_alu instid0(VALU_DEP_1) | instskip(NEXT) | instid1(VALU_DEP_1)
	v_div_scale_f64 v[19:20], null, v[17:18], v[17:18], v[14:15]
	v_rcp_f64_e32 v[21:22], v[19:20]
	s_waitcnt_depctr 0xfff
	v_fma_f64 v[23:24], -v[19:20], v[21:22], 1.0
	s_delay_alu instid0(VALU_DEP_1) | instskip(NEXT) | instid1(VALU_DEP_1)
	v_fma_f64 v[21:22], v[21:22], v[23:24], v[21:22]
	v_fma_f64 v[23:24], -v[19:20], v[21:22], 1.0
	s_delay_alu instid0(VALU_DEP_1) | instskip(SKIP_1) | instid1(VALU_DEP_1)
	v_fma_f64 v[21:22], v[21:22], v[23:24], v[21:22]
	v_div_scale_f64 v[23:24], vcc_lo, v[14:15], v[17:18], v[14:15]
	v_mul_f64 v[25:26], v[23:24], v[21:22]
	s_delay_alu instid0(VALU_DEP_1) | instskip(NEXT) | instid1(VALU_DEP_1)
	v_fma_f64 v[19:20], -v[19:20], v[25:26], v[23:24]
	v_div_fmas_f64 v[19:20], v[19:20], v[21:22], v[25:26]
	s_delay_alu instid0(VALU_DEP_1)
	v_div_fixup_f64 v[14:15], v[19:20], v[17:18], v[14:15]
.LBB1_7:
	s_or_b32 exec_lo, exec_lo, s6
	s_delay_alu instid0(VALU_DEP_2)
	v_frexp_mant_f64_e32 v[17:18], v[2:3]
	s_mov_b32 s7, 0x3fe55555
	s_mov_b32 s6, 0x55555555
	v_mov_b32_e32 v19, 0
	s_mov_b32 s8, 0x6b47b09a
	s_mov_b32 s10, 0xbf559e2b
	;; [unrolled: 1-line block ×4, first 2 shown]
	v_fma_f64 v[10:11], v[10:11], v[10:11], -2.0
	s_delay_alu instid0(VALU_DEP_3) | instskip(SKIP_2) | instid1(VALU_DEP_1)
	v_cmp_gt_f64_e32 vcc_lo, s[6:7], v[17:18]
	s_mov_b32 s6, 0x55555780
	v_cndmask_b32_e64 v20, 0x3ff00000, 2.0, vcc_lo
	v_mul_f64 v[17:18], v[17:18], v[19:20]
	s_delay_alu instid0(VALU_DEP_1) | instskip(SKIP_1) | instid1(VALU_DEP_2)
	v_add_f64 v[19:20], v[17:18], 1.0
	v_add_f64 v[25:26], v[17:18], -1.0
	v_rcp_f64_e32 v[21:22], v[19:20]
	v_add_f64 v[27:28], v[19:20], -1.0
	s_delay_alu instid0(VALU_DEP_1) | instskip(SKIP_2) | instid1(VALU_DEP_1)
	v_add_f64 v[17:18], v[17:18], -v[27:28]
	s_waitcnt_depctr 0xfff
	v_fma_f64 v[23:24], -v[19:20], v[21:22], 1.0
	v_fma_f64 v[21:22], v[23:24], v[21:22], v[21:22]
	s_delay_alu instid0(VALU_DEP_1) | instskip(NEXT) | instid1(VALU_DEP_1)
	v_fma_f64 v[23:24], -v[19:20], v[21:22], 1.0
	v_fma_f64 v[21:22], v[23:24], v[21:22], v[21:22]
	s_delay_alu instid0(VALU_DEP_1) | instskip(NEXT) | instid1(VALU_DEP_1)
	v_mul_f64 v[23:24], v[25:26], v[21:22]
	v_mul_f64 v[29:30], v[19:20], v[23:24]
	s_delay_alu instid0(VALU_DEP_1) | instskip(NEXT) | instid1(VALU_DEP_1)
	v_fma_f64 v[19:20], v[23:24], v[19:20], -v[29:30]
	v_fma_f64 v[17:18], v[23:24], v[17:18], v[19:20]
	s_delay_alu instid0(VALU_DEP_1) | instskip(NEXT) | instid1(VALU_DEP_1)
	v_add_f64 v[19:20], v[29:30], v[17:18]
	v_add_f64 v[27:28], v[25:26], -v[19:20]
	v_add_f64 v[29:30], v[19:20], -v[29:30]
	s_delay_alu instid0(VALU_DEP_2) | instskip(NEXT) | instid1(VALU_DEP_2)
	v_add_f64 v[25:26], v[25:26], -v[27:28]
	v_add_f64 v[17:18], v[29:30], -v[17:18]
	v_frexp_exp_i32_f64_e32 v29, v[2:3]
	s_delay_alu instid0(VALU_DEP_3) | instskip(NEXT) | instid1(VALU_DEP_1)
	v_add_f64 v[19:20], v[25:26], -v[19:20]
	v_add_f64 v[17:18], v[17:18], v[19:20]
	s_delay_alu instid0(VALU_DEP_1) | instskip(NEXT) | instid1(VALU_DEP_1)
	v_add_f64 v[17:18], v[27:28], v[17:18]
	v_mul_f64 v[17:18], v[21:22], v[17:18]
	s_delay_alu instid0(VALU_DEP_1) | instskip(NEXT) | instid1(VALU_DEP_1)
	v_add_f64 v[19:20], v[23:24], v[17:18]
	v_mul_f64 v[21:22], v[19:20], v[19:20]
	s_delay_alu instid0(VALU_DEP_1) | instskip(SKIP_3) | instid1(VALU_DEP_2)
	v_fma_f64 v[25:26], v[21:22], s[10:11], s[8:9]
	s_mov_b32 s8, 0xd7f4df2e
	s_mov_b32 s9, 0x3fc7474d
	v_mul_f64 v[27:28], v[19:20], v[21:22]
	v_fma_f64 v[25:26], v[21:22], v[25:26], s[8:9]
	s_mov_b32 s8, 0x16291751
	s_mov_b32 s9, 0x3fcc71c0
	s_delay_alu instid0(VALU_DEP_1) | instid1(SALU_CYCLE_1)
	v_fma_f64 v[25:26], v[21:22], v[25:26], s[8:9]
	s_mov_b32 s8, 0x9b27acf1
	s_mov_b32 s9, 0x3fd24924
	s_delay_alu instid0(VALU_DEP_1) | instid1(SALU_CYCLE_1)
	v_fma_f64 v[25:26], v[21:22], v[25:26], s[8:9]
	s_mov_b32 s8, 0x998ef7b6
	s_mov_b32 s9, 0x3fd99999
	s_delay_alu instid0(VALU_DEP_1) | instid1(SALU_CYCLE_1)
	v_fma_f64 v[25:26], v[21:22], v[25:26], s[8:9]
	s_mov_b32 s9, 0x3ca3cee1
	s_mov_b32 s8, 0xe6a7fd77
	s_delay_alu instid0(VALU_DEP_1) | instskip(SKIP_4) | instid1(VALU_DEP_3)
	v_fma_f64 v[21:22], v[21:22], v[25:26], s[6:7]
	v_ldexp_f64 v[25:26], v[19:20], 1
	v_add_f64 v[19:20], v[19:20], -v[23:24]
	s_mov_b32 s6, 0xc384c2aa
	s_mov_b32 s7, 0x3d27fb0a
	v_mul_f64 v[21:22], v[27:28], v[21:22]
	v_subrev_co_ci_u32_e32 v27, vcc_lo, 0, v29, vcc_lo
	v_fma_f64 v[29:30], v[10:11], s[8:9], s[6:7]
	s_mov_b32 s6, 0xfefa39ef
	s_mov_b32 s7, 0x3fe62e42
	s_delay_alu instid0(VALU_DEP_2) | instskip(SKIP_4) | instid1(VALU_DEP_4)
	v_cvt_f64_i32_e32 v[27:28], v27
	v_add_f64 v[17:18], v[17:18], -v[19:20]
	s_mov_b32 s9, 0xbca3cee1
	v_cmp_eq_f64_e32 vcc_lo, 0x7ff00000, v[2:3]
	v_add_f64 v[23:24], v[25:26], v[21:22]
	v_mul_f64 v[31:32], v[27:28], s[6:7]
	s_delay_alu instid0(VALU_DEP_4) | instskip(NEXT) | instid1(VALU_DEP_3)
	v_ldexp_f64 v[17:18], v[17:18], 1
	v_add_f64 v[19:20], v[23:24], -v[25:26]
	v_fma_f64 v[25:26], v[10:11], v[29:30], s[8:9]
	s_delay_alu instid0(VALU_DEP_4) | instskip(SKIP_2) | instid1(VALU_DEP_3)
	v_fma_f64 v[33:34], v[27:28], s[6:7], -v[31:32]
	s_mov_b32 s6, 0x47512144
	s_mov_b32 s7, 0x3da6c25c
	v_add_f64 v[19:20], v[21:22], -v[19:20]
	s_delay_alu instid0(VALU_DEP_3)
	v_add_f64 v[21:22], v[25:26], s[6:7]
	s_mov_b32 s6, 0x3b39803f
	s_mov_b32 s7, 0x3c7abc9e
	s_delay_alu instid0(VALU_DEP_3) | instid1(SALU_CYCLE_1)
	v_fma_f64 v[25:26], v[27:28], s[6:7], v[33:34]
	s_mov_b32 s6, 0x67e58a13
	s_mov_b32 s7, 0x3e205c13
	s_delay_alu instid0(VALU_DEP_3) | instskip(NEXT) | instid1(VALU_DEP_3)
	v_add_f64 v[17:18], v[17:18], v[19:20]
	v_fma_f64 v[19:20], v[10:11], v[21:22], -v[29:30]
	s_delay_alu instid0(VALU_DEP_3) | instskip(NEXT) | instid1(VALU_DEP_3)
	v_add_f64 v[27:28], v[31:32], v[25:26]
	v_add_f64 v[29:30], v[23:24], v[17:18]
	s_delay_alu instid0(VALU_DEP_3) | instskip(SKIP_2) | instid1(VALU_DEP_3)
	v_add_f64 v[19:20], v[19:20], s[6:7]
	s_mov_b32 s6, 0xe7f95efc
	s_mov_b32 s7, 0x3e9102bc
	v_add_f64 v[31:32], v[27:28], -v[31:32]
	s_delay_alu instid0(VALU_DEP_3) | instskip(NEXT) | instid1(VALU_DEP_3)
	v_add_f64 v[33:34], v[27:28], v[29:30]
	v_fma_f64 v[21:22], v[10:11], v[19:20], -v[21:22]
	v_add_f64 v[23:24], v[29:30], -v[23:24]
	s_delay_alu instid0(VALU_DEP_4) | instskip(NEXT) | instid1(VALU_DEP_4)
	v_add_f64 v[25:26], v[25:26], -v[31:32]
	v_add_f64 v[35:36], v[33:34], -v[27:28]
	s_delay_alu instid0(VALU_DEP_4) | instskip(NEXT) | instid1(VALU_DEP_4)
	v_add_f64 v[21:22], v[21:22], s[6:7]
	v_add_f64 v[17:18], v[17:18], -v[23:24]
	s_mov_b32 s6, 0xfe8cfca0
	s_mov_b32 s7, 0x3ef7f900
	s_delay_alu instid0(VALU_DEP_3) | instskip(NEXT) | instid1(VALU_DEP_3)
	v_add_f64 v[37:38], v[33:34], -v[35:36]
	v_fma_f64 v[19:20], v[10:11], v[21:22], -v[19:20]
	v_add_f64 v[23:24], v[29:30], -v[35:36]
	s_delay_alu instid0(VALU_DEP_4) | instskip(NEXT) | instid1(VALU_DEP_4)
	v_add_f64 v[29:30], v[25:26], v[17:18]
	v_add_f64 v[27:28], v[27:28], -v[37:38]
	s_delay_alu instid0(VALU_DEP_4) | instskip(SKIP_2) | instid1(VALU_DEP_2)
	v_add_f64 v[19:20], v[19:20], s[6:7]
	s_mov_b32 s6, 0x75633d73
	s_mov_b32 s7, 0x3f54b82e
	v_add_f64 v[23:24], v[23:24], v[27:28]
	s_delay_alu instid0(VALU_DEP_2) | instskip(SKIP_1) | instid1(VALU_DEP_3)
	v_fma_f64 v[21:22], v[10:11], v[19:20], -v[21:22]
	v_add_f64 v[27:28], v[29:30], -v[25:26]
	v_add_f64 v[23:24], v[29:30], v[23:24]
	s_delay_alu instid0(VALU_DEP_3) | instskip(NEXT) | instid1(VALU_DEP_3)
	v_add_f64 v[21:22], v[21:22], s[6:7]
	v_add_f64 v[29:30], v[29:30], -v[27:28]
	v_add_f64 v[17:18], v[17:18], -v[27:28]
	s_mov_b32 s6, 0x554a9085
	s_mov_b32 s7, 0x3fa26bf6
	s_delay_alu instid0(VALU_DEP_4) | instskip(NEXT) | instid1(VALU_DEP_4)
	v_add_f64 v[31:32], v[33:34], v[23:24]
	v_fma_f64 v[19:20], v[10:11], v[21:22], -v[19:20]
	s_delay_alu instid0(VALU_DEP_4) | instskip(NEXT) | instid1(VALU_DEP_3)
	v_add_f64 v[25:26], v[25:26], -v[29:30]
	v_add_f64 v[27:28], v[31:32], -v[33:34]
	s_delay_alu instid0(VALU_DEP_3) | instskip(NEXT) | instid1(VALU_DEP_3)
	v_add_f64 v[19:20], v[19:20], s[6:7]
	v_add_f64 v[17:18], v[17:18], v[25:26]
	s_mov_b32 s6, 0x81213db9
	s_mov_b32 s7, 0x3fd608d8
	s_delay_alu instid0(VALU_DEP_3) | instskip(NEXT) | instid1(VALU_DEP_3)
	v_add_f64 v[23:24], v[23:24], -v[27:28]
	v_fma_f64 v[21:22], v[10:11], v[19:20], -v[21:22]
	s_delay_alu instid0(VALU_DEP_2) | instskip(NEXT) | instid1(VALU_DEP_2)
	v_add_f64 v[17:18], v[17:18], v[23:24]
	v_add_f64 v[21:22], v[21:22], s[6:7]
	s_mov_b32 s6, 0xe9d2f61f
	s_mov_b32 s7, 0xbfe12166
	s_delay_alu instid0(VALU_DEP_2) | instskip(NEXT) | instid1(VALU_DEP_2)
	v_add_f64 v[17:18], v[31:32], v[17:18]
	v_fma_f64 v[10:11], v[10:11], v[21:22], -v[19:20]
	s_delay_alu instid0(VALU_DEP_2) | instskip(SKIP_1) | instid1(VALU_DEP_3)
	v_dual_cndmask_b32 v18, v18, v3 :: v_dual_cndmask_b32 v17, v17, v2
	v_cmp_neq_f64_e32 vcc_lo, 0, v[2:3]
	v_add_f64 v[2:3], v[10:11], s[6:7]
	s_delay_alu instid0(VALU_DEP_3) | instskip(NEXT) | instid1(VALU_DEP_4)
	v_cndmask_b32_e32 v11, 0xfff00000, v18, vcc_lo
	v_cndmask_b32_e32 v10, 0, v17, vcc_lo
	s_delay_alu instid0(VALU_DEP_3) | instskip(NEXT) | instid1(VALU_DEP_2)
	v_add_f64 v[2:3], v[2:3], -v[19:20]
	v_mul_f64 v[10:11], v[10:11], v[14:15]
	s_delay_alu instid0(VALU_DEP_1)
	v_fma_f64 v[2:3], v[2:3], 0.5, -v[10:11]
.LBB1_8:
	s_and_not1_saveexec_b32 s5, s5
	s_cbranch_execz .LBB1_10
; %bb.9:
	v_div_scale_f64 v[2:3], null, v[10:11], v[10:11], 0x40200000
	v_div_scale_f64 v[19:20], vcc_lo, 0x40200000, v[10:11], 0x40200000
	s_mov_b32 s6, 0x93812603
	s_mov_b32 s7, 0xbc72fecc
	s_mov_b32 s9, 0x3c5871a5
	s_mov_b32 s8, 0xcf8c9ee1
	v_cmp_nlt_f64_e64 s0, 0x4090cc00, v[10:11]
	s_delay_alu instid0(VALU_DEP_3) | instskip(SKIP_2) | instid1(VALU_DEP_1)
	v_rcp_f64_e32 v[14:15], v[2:3]
	s_waitcnt_depctr 0xfff
	v_fma_f64 v[17:18], -v[2:3], v[14:15], 1.0
	v_fma_f64 v[14:15], v[14:15], v[17:18], v[14:15]
	s_delay_alu instid0(VALU_DEP_1) | instskip(NEXT) | instid1(VALU_DEP_1)
	v_fma_f64 v[17:18], -v[2:3], v[14:15], 1.0
	v_fma_f64 v[14:15], v[14:15], v[17:18], v[14:15]
	s_delay_alu instid0(VALU_DEP_1) | instskip(NEXT) | instid1(VALU_DEP_1)
	v_mul_f64 v[17:18], v[19:20], v[14:15]
	v_fma_f64 v[2:3], -v[2:3], v[17:18], v[19:20]
	s_delay_alu instid0(VALU_DEP_1) | instskip(SKIP_1) | instid1(VALU_DEP_2)
	v_div_fmas_f64 v[2:3], v[2:3], v[14:15], v[17:18]
	v_cmp_gt_f64_e32 vcc_lo, 0x10000000, v[10:11]
	v_div_fixup_f64 v[2:3], v[2:3], v[10:11], 0x40200000
	v_cndmask_b32_e64 v25, 0, 1, vcc_lo
	s_delay_alu instid0(VALU_DEP_1) | instskip(NEXT) | instid1(VALU_DEP_1)
	v_lshlrev_b32_e32 v25, 8, v25
	v_ldexp_f64 v[25:26], v[10:11], v25
	s_delay_alu instid0(VALU_DEP_4) | instskip(NEXT) | instid1(VALU_DEP_2)
	v_add_f64 v[2:3], v[2:3], -2.0
	v_rsq_f64_e32 v[27:28], v[25:26]
	s_delay_alu instid0(VALU_DEP_1)
	v_fma_f64 v[14:15], v[2:3], s[8:9], s[6:7]
	s_mov_b32 s9, 0xbc5871a5
	s_mov_b32 s6, 0x41a8cdf4
	;; [unrolled: 1-line block ×3, first 2 shown]
	s_waitcnt_depctr 0xfff
	v_mul_f64 v[29:30], v[25:26], v[27:28]
	v_mul_f64 v[27:28], v[27:28], 0.5
	v_fma_f64 v[17:18], v[2:3], v[14:15], s[8:9]
	s_mov_b32 s8, 0x6a5dcb37
	s_mov_b32 s9, 0x3e5ade15
	s_delay_alu instid0(VALU_DEP_2) | instskip(NEXT) | instid1(VALU_DEP_2)
	v_fma_f64 v[31:32], -v[27:28], v[29:30], 0.5
	v_add_f64 v[17:18], v[17:18], s[6:7]
	s_mov_b32 s6, 0x74d77641
	s_mov_b32 s7, 0xbca82f94
	s_delay_alu instid0(VALU_DEP_2) | instskip(SKIP_1) | instid1(VALU_DEP_3)
	v_fma_f64 v[29:30], v[29:30], v[31:32], v[29:30]
	v_fma_f64 v[27:28], v[27:28], v[31:32], v[27:28]
	v_fma_f64 v[14:15], v[2:3], v[17:18], -v[14:15]
	s_delay_alu instid0(VALU_DEP_3) | instskip(NEXT) | instid1(VALU_DEP_2)
	v_fma_f64 v[31:32], -v[29:30], v[29:30], v[25:26]
	v_add_f64 v[14:15], v[14:15], s[6:7]
	s_mov_b32 s6, 0x6b94785b
	s_mov_b32 s7, 0x3cc3dbf9
	s_delay_alu instid0(VALU_DEP_1) | instskip(NEXT) | instid1(VALU_DEP_1)
	v_fma_f64 v[17:18], v[2:3], v[14:15], -v[17:18]
	v_add_f64 v[17:18], v[17:18], s[6:7]
	s_mov_b32 s6, 0xecfadd36
	s_mov_b32 s7, 0xbce0a690
	s_delay_alu instid0(VALU_DEP_1) | instskip(NEXT) | instid1(VALU_DEP_1)
	v_fma_f64 v[14:15], v[2:3], v[17:18], -v[14:15]
	;; [unrolled: 5-line block ×14, first 2 shown]
	v_add_f64 v[14:15], v[14:15], s[6:7]
	s_mov_b32 s6, 0x652b82fe
	s_mov_b32 s7, 0xbff71547
	s_delay_alu instid0(SALU_CYCLE_1) | instskip(SKIP_2) | instid1(VALU_DEP_2)
	v_mul_f64 v[19:20], v[10:11], s[6:7]
	s_mov_b32 s6, 0x81e3e46f
	s_mov_b32 s7, 0x3e929159
	v_fma_f64 v[17:18], v[2:3], v[14:15], -v[17:18]
	s_delay_alu instid0(VALU_DEP_2) | instskip(NEXT) | instid1(VALU_DEP_2)
	v_rndne_f64_e32 v[19:20], v[19:20]
	v_add_f64 v[17:18], v[17:18], s[6:7]
	s_mov_b32 s6, 0xfefa39ef
	s_mov_b32 s7, 0xbfe62e42
	s_delay_alu instid0(VALU_DEP_2) | instid1(SALU_CYCLE_1)
	v_fma_f64 v[21:22], v[19:20], s[6:7], -v[10:11]
	s_mov_b32 s6, 0x3b39803f
	s_mov_b32 s7, 0xbc7abc9e
	v_cndmask_b32_e64 v10, 0, 0xffffff80, vcc_lo
	v_cmp_class_f64_e64 vcc_lo, v[25:26], 0x260
	s_delay_alu instid0(VALU_DEP_4) | instskip(NEXT) | instid1(VALU_DEP_4)
	v_fma_f64 v[14:15], v[2:3], v[17:18], -v[14:15]
	v_fma_f64 v[21:22], v[19:20], s[6:7], v[21:22]
	s_mov_b32 s6, 0x7f18d3a9
	s_mov_b32 s7, 0xbebebb54
	s_delay_alu instid0(VALU_DEP_2) | instid1(SALU_CYCLE_1)
	v_add_f64 v[14:15], v[14:15], s[6:7]
	s_mov_b32 s6, 0xfca7ab0c
	s_mov_b32 s7, 0x3e928af3
	s_delay_alu instid0(VALU_DEP_2) | instid1(SALU_CYCLE_1)
	v_fma_f64 v[23:24], v[21:22], s[8:9], s[6:7]
	s_mov_b32 s6, 0x623fde64
	s_mov_b32 s7, 0x3ec71dee
	s_delay_alu instid0(VALU_DEP_2) | instskip(NEXT) | instid1(VALU_DEP_2)
	v_fma_f64 v[17:18], v[2:3], v[14:15], -v[17:18]
	v_fma_f64 v[23:24], v[21:22], v[23:24], s[6:7]
	s_mov_b32 s6, 0xcc7470a9
	s_mov_b32 s7, 0x3eed413f
	s_delay_alu instid0(VALU_DEP_2) | instid1(SALU_CYCLE_1)
	v_add_f64 v[17:18], v[17:18], s[6:7]
	s_mov_b32 s6, 0x7c89e6b0
	s_mov_b32 s7, 0x3efa0199
	s_delay_alu instid0(VALU_DEP_2) | instid1(SALU_CYCLE_1)
	v_fma_f64 v[23:24], v[21:22], v[23:24], s[6:7]
	s_mov_b32 s6, 0x14761f6e
	s_mov_b32 s7, 0x3f2a01a0
	s_delay_alu instid0(VALU_DEP_2) | instskip(NEXT) | instid1(VALU_DEP_2)
	;; [unrolled: 13-line block ×4, first 2 shown]
	v_fma_f64 v[14:15], v[2:3], v[17:18], -v[14:15]
	v_fma_f64 v[23:24], v[21:22], v[23:24], s[6:7]
	s_mov_b32 s6, 0x2d4ff71e
	s_mov_b32 s7, 0xbfa019f7
	s_delay_alu instid0(VALU_DEP_2) | instid1(SALU_CYCLE_1)
	v_add_f64 v[14:15], v[14:15], s[6:7]
	s_mov_b32 s6, 11
	s_mov_b32 s7, 0x3fe00000
	s_delay_alu instid0(VALU_DEP_2) | instid1(SALU_CYCLE_1)
	v_fma_f64 v[23:24], v[21:22], v[23:24], s[6:7]
	s_mov_b32 s6, 0x9f4e6907
	s_mov_b32 s7, 0x400385bd
	s_delay_alu instid0(VALU_DEP_2) | instskip(SKIP_2) | instid1(VALU_DEP_4)
	v_fma_f64 v[2:3], v[2:3], v[14:15], -v[17:18]
	v_fma_f64 v[14:15], v[31:32], v[27:28], v[29:30]
	v_cvt_i32_f64_e32 v29, v[19:20]
	v_fma_f64 v[23:24], v[21:22], v[23:24], 1.0
	s_delay_alu instid0(VALU_DEP_4) | instskip(NEXT) | instid1(VALU_DEP_4)
	v_add_f64 v[2:3], v[2:3], s[6:7]
	v_fma_f64 v[19:20], -v[14:15], v[14:15], v[25:26]
	s_delay_alu instid0(VALU_DEP_3) | instskip(NEXT) | instid1(VALU_DEP_3)
	v_fma_f64 v[21:22], v[21:22], v[23:24], 1.0
	v_add_f64 v[2:3], v[2:3], -v[17:18]
	s_delay_alu instid0(VALU_DEP_3) | instskip(NEXT) | instid1(VALU_DEP_3)
	v_fma_f64 v[14:15], v[19:20], v[27:28], v[14:15]
	v_ldexp_f64 v[17:18], v[21:22], v29
	s_delay_alu instid0(VALU_DEP_3) | instskip(NEXT) | instid1(VALU_DEP_3)
	v_mul_f64 v[2:3], v[2:3], 0.5
	v_ldexp_f64 v[10:11], v[14:15], v10
	s_delay_alu instid0(VALU_DEP_3) | instskip(NEXT) | instid1(VALU_DEP_4)
	v_cndmask_b32_e64 v15, 0, v18, s0
	v_cndmask_b32_e64 v14, 0, v17, s0
	s_delay_alu instid0(VALU_DEP_1) | instskip(NEXT) | instid1(VALU_DEP_4)
	v_mul_f64 v[2:3], v[14:15], v[2:3]
	v_dual_cndmask_b32 v11, v11, v26 :: v_dual_cndmask_b32 v10, v10, v25
	s_delay_alu instid0(VALU_DEP_1) | instskip(NEXT) | instid1(VALU_DEP_1)
	v_div_scale_f64 v[14:15], null, v[10:11], v[10:11], v[2:3]
	v_rcp_f64_e32 v[17:18], v[14:15]
	s_waitcnt_depctr 0xfff
	v_fma_f64 v[19:20], -v[14:15], v[17:18], 1.0
	s_delay_alu instid0(VALU_DEP_1) | instskip(NEXT) | instid1(VALU_DEP_1)
	v_fma_f64 v[17:18], v[17:18], v[19:20], v[17:18]
	v_fma_f64 v[19:20], -v[14:15], v[17:18], 1.0
	s_delay_alu instid0(VALU_DEP_1) | instskip(SKIP_1) | instid1(VALU_DEP_1)
	v_fma_f64 v[17:18], v[17:18], v[19:20], v[17:18]
	v_div_scale_f64 v[19:20], vcc_lo, v[2:3], v[10:11], v[2:3]
	v_mul_f64 v[21:22], v[19:20], v[17:18]
	s_delay_alu instid0(VALU_DEP_1) | instskip(NEXT) | instid1(VALU_DEP_1)
	v_fma_f64 v[14:15], -v[14:15], v[21:22], v[19:20]
	v_div_fmas_f64 v[14:15], v[14:15], v[17:18], v[21:22]
	s_delay_alu instid0(VALU_DEP_1)
	v_div_fixup_f64 v[2:3], v[14:15], v[10:11], v[2:3]
.LBB1_10:
	s_or_b32 exec_lo, exec_lo, s5
.LBB1_11:
	s_delay_alu instid0(SALU_CYCLE_1)
	s_or_b32 exec_lo, exec_lo, s4
.LBB1_12:
	s_delay_alu instid0(SALU_CYCLE_1) | instskip(NEXT) | instid1(SALU_CYCLE_1)
	s_or_b32 exec_lo, exec_lo, s1
	s_mov_b32 s1, exec_lo
	v_cmpx_neq_f64_e32 0, v[12:13]
	s_cbranch_execz .LBB1_24
; %bb.13:
	v_mov_b32_e32 v4, 0
	v_mov_b32_e32 v5, 0x7ff80000
	s_mov_b32 s4, exec_lo
	v_cmpx_ngt_f64_e32 0, v[12:13]
	s_cbranch_execz .LBB1_23
; %bb.14:
	s_mov_b32 s0, exec_lo
	v_cmpx_ge_f64_e32 2.0, v[12:13]
	s_xor_b32 s5, exec_lo, s0
	s_cbranch_execz .LBB1_20
; %bb.15:
	v_mul_f64 v[4:5], v[12:13], 0.5
	s_mov_b32 s0, exec_lo
                                        ; implicit-def: $vgpr10_vgpr11
	v_cmpx_ge_f64_e32 0x40200000, v[12:13]
	s_xor_b32 s0, exec_lo, s0
	s_cbranch_execz .LBB1_17
; %bb.16:
	s_delay_alu instid0(VALU_DEP_2)
	v_add_f64 v[10:11], v[4:5], -2.0
	s_mov_b32 s6, 0x977da589
	s_mov_b32 s7, 0x3c833362
	s_mov_b32 s9, 0xbc545cb7
	s_mov_b32 s8, 0x2134d0ef
	v_cmp_nlt_f64_e32 vcc_lo, 0x40900000, v[12:13]
	s_delay_alu instid0(VALU_DEP_2) | instskip(SKIP_3) | instid1(VALU_DEP_1)
	v_fma_f64 v[14:15], v[10:11], s[8:9], s[6:7]
	s_mov_b32 s9, 0x3c545cb7
	s_mov_b32 s6, 0x721ebbb4
	;; [unrolled: 1-line block ×3, first 2 shown]
	v_fma_f64 v[17:18], v[10:11], v[14:15], s[8:9]
	s_mov_b32 s8, 0x6a5dcb37
	s_mov_b32 s9, 0x3e5ade15
	s_delay_alu instid0(VALU_DEP_1) | instskip(SKIP_2) | instid1(VALU_DEP_1)
	v_add_f64 v[17:18], v[17:18], s[6:7]
	s_mov_b32 s6, 0x93f65eba
	s_mov_b32 s7, 0x3cdee6d8
	v_fma_f64 v[14:15], v[10:11], v[17:18], -v[14:15]
	s_delay_alu instid0(VALU_DEP_1) | instskip(SKIP_2) | instid1(VALU_DEP_1)
	v_add_f64 v[14:15], v[14:15], s[6:7]
	s_mov_b32 s6, 0xc297fbeb
	s_mov_b32 s7, 0xbd0a5022
	v_fma_f64 v[17:18], v[10:11], v[14:15], -v[17:18]
	;; [unrolled: 5-line block ×20, first 2 shown]
	s_delay_alu instid0(VALU_DEP_1) | instskip(SKIP_2) | instid1(SALU_CYCLE_1)
	v_add_f64 v[17:18], v[17:18], s[6:7]
	s_mov_b32 s6, 0x652b82fe
	s_mov_b32 s7, 0x3ff71547
	v_mul_f64 v[19:20], v[12:13], s[6:7]
	s_mov_b32 s6, 0xf3dde3dd
	s_mov_b32 s7, 0x3f859961
	s_delay_alu instid0(VALU_DEP_2) | instskip(NEXT) | instid1(VALU_DEP_2)
	v_fma_f64 v[14:15], v[10:11], v[17:18], -v[14:15]
	v_rndne_f64_e32 v[19:20], v[19:20]
	s_delay_alu instid0(VALU_DEP_2)
	v_add_f64 v[14:15], v[14:15], s[6:7]
	s_mov_b32 s6, 0xfefa39ef
	s_mov_b32 s7, 0xbfe62e42
	s_delay_alu instid0(VALU_DEP_2) | instid1(SALU_CYCLE_1)
	v_fma_f64 v[21:22], v[19:20], s[6:7], v[12:13]
	s_mov_b32 s6, 0x3b39803f
	s_mov_b32 s7, 0xbc7abc9e
	s_delay_alu instid0(VALU_DEP_2) | instskip(NEXT) | instid1(VALU_DEP_2)
	v_fma_f64 v[17:18], v[10:11], v[14:15], -v[17:18]
	v_fma_f64 v[21:22], v[19:20], s[6:7], v[21:22]
	s_mov_b32 s6, 0xf121b6f0
	s_mov_b32 s7, 0xbf984e9e
	v_cvt_i32_f64_e32 v19, v[19:20]
	s_delay_alu instid0(VALU_DEP_3)
	v_add_f64 v[17:18], v[17:18], s[6:7]
	s_mov_b32 s6, 0xfca7ab0c
	s_mov_b32 s7, 0x3e928af3
	s_delay_alu instid0(VALU_DEP_3) | instid1(SALU_CYCLE_1)
	v_fma_f64 v[23:24], v[21:22], s[8:9], s[6:7]
	s_mov_b32 s6, 0x623fde64
	s_mov_b32 s7, 0x3ec71dee
	s_delay_alu instid0(VALU_DEP_2) | instskip(NEXT) | instid1(VALU_DEP_2)
	v_fma_f64 v[14:15], v[10:11], v[17:18], -v[14:15]
	v_fma_f64 v[23:24], v[21:22], v[23:24], s[6:7]
	s_mov_b32 s6, 0xcea8a32d
	s_mov_b32 s7, 0x3fa93e8a
	s_delay_alu instid0(VALU_DEP_2) | instid1(SALU_CYCLE_1)
	v_add_f64 v[14:15], v[14:15], s[6:7]
	s_mov_b32 s6, 0x7c89e6b0
	s_mov_b32 s7, 0x3efa0199
	s_delay_alu instid0(VALU_DEP_2) | instid1(SALU_CYCLE_1)
	v_fma_f64 v[23:24], v[21:22], v[23:24], s[6:7]
	s_mov_b32 s6, 0x14761f6e
	s_mov_b32 s7, 0x3f2a01a0
	s_delay_alu instid0(VALU_DEP_2) | instskip(NEXT) | instid1(VALU_DEP_2)
	v_fma_f64 v[17:18], v[10:11], v[14:15], -v[17:18]
	v_fma_f64 v[23:24], v[21:22], v[23:24], s[6:7]
	s_mov_b32 s6, 0x342d06ea
	s_mov_b32 s7, 0xbfb84b70
	s_delay_alu instid0(VALU_DEP_2) | instid1(SALU_CYCLE_1)
	v_add_f64 v[17:18], v[17:18], s[6:7]
	s_mov_b32 s6, 0x1852b7b0
	s_mov_b32 s7, 0x3f56c16c
	s_delay_alu instid0(VALU_DEP_2) | instid1(SALU_CYCLE_1)
	;; [unrolled: 13-line block ×4, first 2 shown]
	v_fma_f64 v[23:24], v[21:22], v[23:24], s[6:7]
	s_mov_b32 s6, 0x9035a22a
	s_mov_b32 s7, 0x3fe5a84e
	s_delay_alu instid0(VALU_DEP_2) | instskip(NEXT) | instid1(VALU_DEP_2)
	v_fma_f64 v[10:11], v[10:11], v[17:18], -v[14:15]
	v_fma_f64 v[17:18], v[21:22], v[23:24], 1.0
	s_delay_alu instid0(VALU_DEP_2) | instskip(NEXT) | instid1(VALU_DEP_2)
	v_add_f64 v[10:11], v[10:11], s[6:7]
	v_fma_f64 v[17:18], v[21:22], v[17:18], 1.0
	s_delay_alu instid0(VALU_DEP_2) | instskip(NEXT) | instid1(VALU_DEP_2)
	v_add_f64 v[10:11], v[10:11], -v[14:15]
	v_ldexp_f64 v[14:15], v[17:18], v19
	s_delay_alu instid0(VALU_DEP_2) | instskip(NEXT) | instid1(VALU_DEP_2)
	v_mul_f64 v[10:11], v[10:11], 0.5
	v_cndmask_b32_e32 v15, 0x7ff00000, v15, vcc_lo
	s_delay_alu instid0(VALU_DEP_3) | instskip(NEXT) | instid1(VALU_DEP_1)
	v_cndmask_b32_e32 v14, 0, v14, vcc_lo
	v_mul_f64 v[10:11], v[14:15], v[10:11]
.LBB1_17:
	s_and_not1_saveexec_b32 s6, s0
	s_cbranch_execz .LBB1_19
; %bb.18:
	v_div_scale_f64 v[10:11], null, v[12:13], v[12:13], 0x40400000
	v_div_scale_f64 v[19:20], vcc_lo, 0x40400000, v[12:13], 0x40400000
	s_mov_b32 s8, 0x66119130
	s_mov_b32 s9, 0xbc5646da
	;; [unrolled: 1-line block ×4, first 2 shown]
	v_cmp_nlt_f64_e64 s0, 0x40900000, v[12:13]
	s_delay_alu instid0(VALU_DEP_3) | instskip(SKIP_2) | instid1(VALU_DEP_1)
	v_rcp_f64_e32 v[14:15], v[10:11]
	s_waitcnt_depctr 0xfff
	v_fma_f64 v[17:18], -v[10:11], v[14:15], 1.0
	v_fma_f64 v[14:15], v[14:15], v[17:18], v[14:15]
	s_delay_alu instid0(VALU_DEP_1) | instskip(NEXT) | instid1(VALU_DEP_1)
	v_fma_f64 v[17:18], -v[10:11], v[14:15], 1.0
	v_fma_f64 v[14:15], v[14:15], v[17:18], v[14:15]
	s_delay_alu instid0(VALU_DEP_1) | instskip(NEXT) | instid1(VALU_DEP_1)
	v_mul_f64 v[17:18], v[19:20], v[14:15]
	v_fma_f64 v[10:11], -v[10:11], v[17:18], v[19:20]
	s_delay_alu instid0(VALU_DEP_1) | instskip(SKIP_1) | instid1(VALU_DEP_2)
	v_div_fmas_f64 v[10:11], v[10:11], v[14:15], v[17:18]
	v_cmp_gt_f64_e32 vcc_lo, 0x10000000, v[12:13]
	v_div_fixup_f64 v[10:11], v[10:11], v[12:13], 0x40400000
	v_cndmask_b32_e64 v25, 0, 1, vcc_lo
	s_delay_alu instid0(VALU_DEP_1) | instskip(NEXT) | instid1(VALU_DEP_1)
	v_lshlrev_b32_e32 v25, 8, v25
	v_ldexp_f64 v[25:26], v[12:13], v25
	s_delay_alu instid0(VALU_DEP_4) | instskip(NEXT) | instid1(VALU_DEP_2)
	v_add_f64 v[10:11], v[10:11], -2.0
	v_rsq_f64_e32 v[27:28], v[25:26]
	s_delay_alu instid0(VALU_DEP_1)
	v_fma_f64 v[14:15], v[10:11], s[10:11], s[8:9]
	s_mov_b32 s11, 0x3c60adb7
	s_mov_b32 s8, 0x12d98421
	;; [unrolled: 1-line block ×3, first 2 shown]
	s_waitcnt_depctr 0xfff
	v_mul_f64 v[29:30], v[25:26], v[27:28]
	v_mul_f64 v[27:28], v[27:28], 0.5
	v_fma_f64 v[17:18], v[10:11], v[14:15], s[10:11]
	s_mov_b32 s10, 0x6a5dcb37
	s_mov_b32 s11, 0x3e5ade15
	s_delay_alu instid0(VALU_DEP_2) | instskip(NEXT) | instid1(VALU_DEP_2)
	v_fma_f64 v[31:32], -v[27:28], v[29:30], 0.5
	v_add_f64 v[17:18], v[17:18], s[8:9]
	s_mov_b32 s8, 0x76041cd
	s_mov_b32 s9, 0x3c83f3dd
	s_delay_alu instid0(VALU_DEP_2) | instskip(SKIP_1) | instid1(VALU_DEP_3)
	v_fma_f64 v[29:30], v[29:30], v[31:32], v[29:30]
	v_fma_f64 v[27:28], v[27:28], v[31:32], v[27:28]
	v_fma_f64 v[14:15], v[10:11], v[17:18], -v[14:15]
	s_delay_alu instid0(VALU_DEP_3) | instskip(NEXT) | instid1(VALU_DEP_2)
	v_fma_f64 v[31:32], -v[29:30], v[29:30], v[25:26]
	v_add_f64 v[14:15], v[14:15], s[8:9]
	s_mov_b32 s8, 0xabd21fe4
	s_mov_b32 s9, 0xbcb4600b
	s_delay_alu instid0(VALU_DEP_1) | instskip(NEXT) | instid1(VALU_DEP_1)
	v_fma_f64 v[17:18], v[10:11], v[14:15], -v[17:18]
	v_add_f64 v[17:18], v[17:18], s[8:9]
	s_mov_b32 s8, 0xd908de38
	s_mov_b32 s9, 0xbcb8aee7
	s_delay_alu instid0(VALU_DEP_1) | instskip(NEXT) | instid1(VALU_DEP_1)
	v_fma_f64 v[14:15], v[10:11], v[17:18], -v[14:15]
	v_add_f64 v[14:15], v[14:15], s[8:9]
	s_mov_b32 s8, 0xa3eafb1f
	s_mov_b32 s9, 0x3cdfee7d
	s_delay_alu instid0(VALU_DEP_1) | instskip(NEXT) | instid1(VALU_DEP_1)
	v_fma_f64 v[17:18], v[10:11], v[14:15], -v[17:18]
	v_add_f64 v[17:18], v[17:18], s[8:9]
	s_mov_b32 s8, 0x9094e6d7
	s_mov_b32 s9, 0x3cf12a91
	s_delay_alu instid0(VALU_DEP_1) | instskip(NEXT) | instid1(VALU_DEP_1)
	v_fma_f64 v[14:15], v[10:11], v[17:18], -v[14:15]
	v_add_f64 v[14:15], v[14:15], s[8:9]
	s_mov_b32 s8, 0x7e65629a
	s_mov_b32 s9, 0xbd0583fe
	s_delay_alu instid0(VALU_DEP_1) | instskip(NEXT) | instid1(VALU_DEP_1)
	v_fma_f64 v[17:18], v[10:11], v[14:15], -v[17:18]
	v_add_f64 v[17:18], v[17:18], s[8:9]
	s_mov_b32 s8, 0xcf68bb32
	s_mov_b32 s9, 0xbd275d99
	s_delay_alu instid0(VALU_DEP_1) | instskip(NEXT) | instid1(VALU_DEP_1)
	v_fma_f64 v[14:15], v[10:11], v[17:18], -v[14:15]
	v_add_f64 v[14:15], v[14:15], s[8:9]
	s_mov_b32 s8, 0xd5fc545
	s_mov_b32 s9, 0x3d1156ff
	s_delay_alu instid0(VALU_DEP_1) | instskip(NEXT) | instid1(VALU_DEP_1)
	v_fma_f64 v[17:18], v[10:11], v[14:15], -v[17:18]
	v_add_f64 v[17:18], v[17:18], s[8:9]
	s_mov_b32 s8, 0x6b83c073
	s_mov_b32 s9, 0x3d5b1c8c
	s_delay_alu instid0(VALU_DEP_1) | instskip(NEXT) | instid1(VALU_DEP_1)
	v_fma_f64 v[14:15], v[10:11], v[17:18], -v[14:15]
	v_add_f64 v[14:15], v[14:15], s[8:9]
	s_mov_b32 s8, 0xfa268cec
	s_mov_b32 s9, 0x3d694347
	s_delay_alu instid0(VALU_DEP_1) | instskip(NEXT) | instid1(VALU_DEP_1)
	v_fma_f64 v[17:18], v[10:11], v[14:15], -v[17:18]
	v_add_f64 v[17:18], v[17:18], s[8:9]
	s_mov_b32 s8, 0x3178d66
	s_mov_b32 s9, 0xbd7f9043
	s_delay_alu instid0(VALU_DEP_1) | instskip(NEXT) | instid1(VALU_DEP_1)
	v_fma_f64 v[14:15], v[10:11], v[17:18], -v[14:15]
	v_add_f64 v[14:15], v[14:15], s[8:9]
	s_mov_b32 s8, 0x357e7bf2
	s_mov_b32 s9, 0xbdad0fd7
	s_delay_alu instid0(VALU_DEP_1) | instskip(NEXT) | instid1(VALU_DEP_1)
	v_fma_f64 v[17:18], v[10:11], v[14:15], -v[17:18]
	v_add_f64 v[17:18], v[17:18], s[8:9]
	s_mov_b32 s8, 0x8397425
	s_mov_b32 s9, 0xbdc1511d
	s_delay_alu instid0(VALU_DEP_1) | instskip(NEXT) | instid1(VALU_DEP_1)
	v_fma_f64 v[14:15], v[10:11], v[17:18], -v[14:15]
	v_add_f64 v[14:15], v[14:15], s[8:9]
	s_mov_b32 s8, 0xabe8004f
	s_mov_b32 s9, 0x3daa24fe
	s_delay_alu instid0(VALU_DEP_1) | instskip(NEXT) | instid1(VALU_DEP_1)
	v_fma_f64 v[17:18], v[10:11], v[14:15], -v[17:18]
	v_add_f64 v[17:18], v[17:18], s[8:9]
	s_mov_b32 s8, 0xc0f46f75
	s_mov_b32 s9, 0x3e00f9cc
	s_delay_alu instid0(VALU_DEP_1) | instskip(NEXT) | instid1(VALU_DEP_1)
	v_fma_f64 v[14:15], v[10:11], v[17:18], -v[14:15]
	v_add_f64 v[14:15], v[14:15], s[8:9]
	s_mov_b32 s8, 0x652b82fe
	s_mov_b32 s9, 0x3ff71547
	s_delay_alu instid0(SALU_CYCLE_1) | instskip(SKIP_2) | instid1(VALU_DEP_2)
	v_mul_f64 v[19:20], v[12:13], s[8:9]
	s_mov_b32 s8, 0xa9225b87
	s_mov_b32 s9, 0x3e2d2c64
	v_fma_f64 v[17:18], v[10:11], v[14:15], -v[17:18]
	s_delay_alu instid0(VALU_DEP_2) | instskip(NEXT) | instid1(VALU_DEP_2)
	v_rndne_f64_e32 v[19:20], v[19:20]
	v_add_f64 v[17:18], v[17:18], s[8:9]
	s_mov_b32 s8, 0xfefa39ef
	s_mov_b32 s9, 0xbfe62e42
	s_delay_alu instid0(VALU_DEP_2) | instid1(SALU_CYCLE_1)
	v_fma_f64 v[21:22], v[19:20], s[8:9], v[12:13]
	s_mov_b32 s8, 0x3b39803f
	s_mov_b32 s9, 0xbc7abc9e
	s_delay_alu instid0(VALU_DEP_2) | instskip(NEXT) | instid1(VALU_DEP_2)
	v_fma_f64 v[14:15], v[10:11], v[17:18], -v[14:15]
	v_fma_f64 v[21:22], v[19:20], s[8:9], v[21:22]
	s_mov_b32 s8, 0x80d6d56d
	s_mov_b32 s9, 0x3e585692
	s_delay_alu instid0(VALU_DEP_2) | instid1(SALU_CYCLE_1)
	v_add_f64 v[14:15], v[14:15], s[8:9]
	s_mov_b32 s8, 0xfca7ab0c
	s_mov_b32 s9, 0x3e928af3
	s_delay_alu instid0(VALU_DEP_2) | instid1(SALU_CYCLE_1)
	v_fma_f64 v[23:24], v[21:22], s[10:11], s[8:9]
	s_mov_b32 s8, 0x623fde64
	s_mov_b32 s9, 0x3ec71dee
	s_delay_alu instid0(VALU_DEP_2) | instskip(NEXT) | instid1(VALU_DEP_2)
	v_fma_f64 v[17:18], v[10:11], v[14:15], -v[17:18]
	v_fma_f64 v[23:24], v[21:22], v[23:24], s[8:9]
	s_mov_b32 s8, 0xd9cd616e
	s_mov_b32 s9, 0x3e8b8007
	s_delay_alu instid0(VALU_DEP_2) | instid1(SALU_CYCLE_1)
	;; [unrolled: 13-line block ×5, first 2 shown]
	v_add_f64 v[14:15], v[14:15], s[8:9]
	s_mov_b32 s8, 11
	s_mov_b32 s9, 0x3fe00000
	s_delay_alu instid0(VALU_DEP_2) | instid1(SALU_CYCLE_1)
	v_fma_f64 v[23:24], v[21:22], v[23:24], s[8:9]
	s_mov_b32 s8, 0xaca809cb
	s_mov_b32 s9, 0x3fe9be62
	s_delay_alu instid0(VALU_DEP_2) | instskip(SKIP_2) | instid1(VALU_DEP_4)
	v_fma_f64 v[10:11], v[10:11], v[14:15], -v[17:18]
	v_fma_f64 v[14:15], v[31:32], v[27:28], v[29:30]
	v_cvt_i32_f64_e32 v29, v[19:20]
	v_fma_f64 v[23:24], v[21:22], v[23:24], 1.0
	s_delay_alu instid0(VALU_DEP_4) | instskip(NEXT) | instid1(VALU_DEP_4)
	v_add_f64 v[10:11], v[10:11], s[8:9]
	v_fma_f64 v[19:20], -v[14:15], v[14:15], v[25:26]
	s_delay_alu instid0(VALU_DEP_3) | instskip(NEXT) | instid1(VALU_DEP_3)
	v_fma_f64 v[21:22], v[21:22], v[23:24], 1.0
	v_add_f64 v[10:11], v[10:11], -v[17:18]
	s_delay_alu instid0(VALU_DEP_3) | instskip(SKIP_4) | instid1(VALU_DEP_4)
	v_fma_f64 v[14:15], v[19:20], v[27:28], v[14:15]
	v_cndmask_b32_e64 v19, 0, 0xffffff80, vcc_lo
	v_cmp_class_f64_e64 vcc_lo, v[25:26], 0x260
	v_ldexp_f64 v[17:18], v[21:22], v29
	v_mul_f64 v[10:11], v[10:11], 0.5
	v_ldexp_f64 v[14:15], v[14:15], v19
	s_delay_alu instid0(VALU_DEP_3) | instskip(NEXT) | instid1(VALU_DEP_4)
	v_cndmask_b32_e64 v18, 0x7ff00000, v18, s0
	v_cndmask_b32_e64 v17, 0, v17, s0
	s_delay_alu instid0(VALU_DEP_1) | instskip(NEXT) | instid1(VALU_DEP_4)
	v_mul_f64 v[10:11], v[17:18], v[10:11]
	v_dual_cndmask_b32 v15, v15, v26 :: v_dual_cndmask_b32 v14, v14, v25
	s_delay_alu instid0(VALU_DEP_1) | instskip(NEXT) | instid1(VALU_DEP_1)
	v_div_scale_f64 v[17:18], null, v[14:15], v[14:15], v[10:11]
	v_rcp_f64_e32 v[19:20], v[17:18]
	s_waitcnt_depctr 0xfff
	v_fma_f64 v[21:22], -v[17:18], v[19:20], 1.0
	s_delay_alu instid0(VALU_DEP_1) | instskip(NEXT) | instid1(VALU_DEP_1)
	v_fma_f64 v[19:20], v[19:20], v[21:22], v[19:20]
	v_fma_f64 v[21:22], -v[17:18], v[19:20], 1.0
	s_delay_alu instid0(VALU_DEP_1) | instskip(SKIP_1) | instid1(VALU_DEP_1)
	v_fma_f64 v[19:20], v[19:20], v[21:22], v[19:20]
	v_div_scale_f64 v[21:22], vcc_lo, v[10:11], v[14:15], v[10:11]
	v_mul_f64 v[23:24], v[21:22], v[19:20]
	s_delay_alu instid0(VALU_DEP_1) | instskip(NEXT) | instid1(VALU_DEP_1)
	v_fma_f64 v[17:18], -v[17:18], v[23:24], v[21:22]
	v_div_fmas_f64 v[17:18], v[17:18], v[19:20], v[23:24]
	s_delay_alu instid0(VALU_DEP_1)
	v_div_fixup_f64 v[10:11], v[17:18], v[14:15], v[10:11]
.LBB1_19:
	s_or_b32 exec_lo, exec_lo, s6
	s_delay_alu instid0(VALU_DEP_2)
	v_frexp_mant_f64_e32 v[14:15], v[4:5]
	s_mov_b32 s7, 0x3fe55555
	s_mov_b32 s6, 0x55555555
	v_mov_b32_e32 v17, 0
	s_mov_b32 s8, 0x6b47b09a
	s_mov_b32 s10, 0xbf559e2b
	;; [unrolled: 1-line block ×4, first 2 shown]
	v_fma_f64 v[12:13], v[12:13], v[12:13], -2.0
	s_delay_alu instid0(VALU_DEP_3) | instskip(SKIP_2) | instid1(VALU_DEP_1)
	v_cmp_gt_f64_e32 vcc_lo, s[6:7], v[14:15]
	s_mov_b32 s6, 0x55555780
	v_cndmask_b32_e64 v18, 0x3ff00000, 2.0, vcc_lo
	v_mul_f64 v[14:15], v[14:15], v[17:18]
	s_delay_alu instid0(VALU_DEP_1) | instskip(SKIP_1) | instid1(VALU_DEP_2)
	v_add_f64 v[17:18], v[14:15], 1.0
	v_add_f64 v[23:24], v[14:15], -1.0
	v_rcp_f64_e32 v[19:20], v[17:18]
	v_add_f64 v[25:26], v[17:18], -1.0
	s_delay_alu instid0(VALU_DEP_1) | instskip(SKIP_2) | instid1(VALU_DEP_1)
	v_add_f64 v[14:15], v[14:15], -v[25:26]
	s_waitcnt_depctr 0xfff
	v_fma_f64 v[21:22], -v[17:18], v[19:20], 1.0
	v_fma_f64 v[19:20], v[21:22], v[19:20], v[19:20]
	s_delay_alu instid0(VALU_DEP_1) | instskip(NEXT) | instid1(VALU_DEP_1)
	v_fma_f64 v[21:22], -v[17:18], v[19:20], 1.0
	v_fma_f64 v[19:20], v[21:22], v[19:20], v[19:20]
	s_delay_alu instid0(VALU_DEP_1) | instskip(NEXT) | instid1(VALU_DEP_1)
	v_mul_f64 v[21:22], v[23:24], v[19:20]
	v_mul_f64 v[27:28], v[17:18], v[21:22]
	s_delay_alu instid0(VALU_DEP_1) | instskip(NEXT) | instid1(VALU_DEP_1)
	v_fma_f64 v[17:18], v[21:22], v[17:18], -v[27:28]
	v_fma_f64 v[14:15], v[21:22], v[14:15], v[17:18]
	s_delay_alu instid0(VALU_DEP_1) | instskip(NEXT) | instid1(VALU_DEP_1)
	v_add_f64 v[17:18], v[27:28], v[14:15]
	v_add_f64 v[25:26], v[23:24], -v[17:18]
	v_add_f64 v[27:28], v[17:18], -v[27:28]
	s_delay_alu instid0(VALU_DEP_2) | instskip(NEXT) | instid1(VALU_DEP_2)
	v_add_f64 v[23:24], v[23:24], -v[25:26]
	v_add_f64 v[14:15], v[27:28], -v[14:15]
	v_frexp_exp_i32_f64_e32 v27, v[4:5]
	s_delay_alu instid0(VALU_DEP_3) | instskip(NEXT) | instid1(VALU_DEP_1)
	v_add_f64 v[17:18], v[23:24], -v[17:18]
	v_add_f64 v[14:15], v[14:15], v[17:18]
	s_delay_alu instid0(VALU_DEP_1) | instskip(NEXT) | instid1(VALU_DEP_1)
	v_add_f64 v[14:15], v[25:26], v[14:15]
	v_mul_f64 v[14:15], v[19:20], v[14:15]
	s_delay_alu instid0(VALU_DEP_1) | instskip(NEXT) | instid1(VALU_DEP_1)
	v_add_f64 v[17:18], v[21:22], v[14:15]
	v_mul_f64 v[19:20], v[17:18], v[17:18]
	s_delay_alu instid0(VALU_DEP_1) | instskip(SKIP_3) | instid1(VALU_DEP_2)
	v_fma_f64 v[23:24], v[19:20], s[10:11], s[8:9]
	s_mov_b32 s8, 0xd7f4df2e
	s_mov_b32 s9, 0x3fc7474d
	v_mul_f64 v[25:26], v[17:18], v[19:20]
	v_fma_f64 v[23:24], v[19:20], v[23:24], s[8:9]
	s_mov_b32 s8, 0x16291751
	s_mov_b32 s9, 0x3fcc71c0
	s_delay_alu instid0(VALU_DEP_1) | instid1(SALU_CYCLE_1)
	v_fma_f64 v[23:24], v[19:20], v[23:24], s[8:9]
	s_mov_b32 s8, 0x9b27acf1
	s_mov_b32 s9, 0x3fd24924
	s_delay_alu instid0(VALU_DEP_1) | instid1(SALU_CYCLE_1)
	;; [unrolled: 4-line block ×3, first 2 shown]
	v_fma_f64 v[23:24], v[19:20], v[23:24], s[8:9]
	s_mov_b32 s9, 0x3ca3cee1
	s_mov_b32 s8, 0xe6a7fd77
	s_delay_alu instid0(VALU_DEP_1) | instskip(SKIP_4) | instid1(VALU_DEP_3)
	v_fma_f64 v[19:20], v[19:20], v[23:24], s[6:7]
	v_ldexp_f64 v[23:24], v[17:18], 1
	v_add_f64 v[17:18], v[17:18], -v[21:22]
	s_mov_b32 s6, 0xc384c2aa
	s_mov_b32 s7, 0x3d27fb0a
	v_mul_f64 v[19:20], v[25:26], v[19:20]
	v_subrev_co_ci_u32_e32 v25, vcc_lo, 0, v27, vcc_lo
	v_fma_f64 v[27:28], v[12:13], s[8:9], s[6:7]
	s_mov_b32 s6, 0xfefa39ef
	s_mov_b32 s7, 0x3fe62e42
	s_delay_alu instid0(VALU_DEP_2) | instskip(SKIP_4) | instid1(VALU_DEP_4)
	v_cvt_f64_i32_e32 v[25:26], v25
	v_add_f64 v[14:15], v[14:15], -v[17:18]
	s_mov_b32 s9, 0xbca3cee1
	v_cmp_eq_f64_e32 vcc_lo, 0x7ff00000, v[4:5]
	v_add_f64 v[21:22], v[23:24], v[19:20]
	v_mul_f64 v[29:30], v[25:26], s[6:7]
	s_delay_alu instid0(VALU_DEP_4) | instskip(NEXT) | instid1(VALU_DEP_3)
	v_ldexp_f64 v[14:15], v[14:15], 1
	v_add_f64 v[17:18], v[21:22], -v[23:24]
	v_fma_f64 v[23:24], v[12:13], v[27:28], s[8:9]
	s_delay_alu instid0(VALU_DEP_4) | instskip(SKIP_2) | instid1(VALU_DEP_3)
	v_fma_f64 v[31:32], v[25:26], s[6:7], -v[29:30]
	s_mov_b32 s6, 0x47512144
	s_mov_b32 s7, 0x3da6c25c
	v_add_f64 v[17:18], v[19:20], -v[17:18]
	s_delay_alu instid0(VALU_DEP_3)
	v_add_f64 v[19:20], v[23:24], s[6:7]
	s_mov_b32 s6, 0x3b39803f
	s_mov_b32 s7, 0x3c7abc9e
	s_delay_alu instid0(VALU_DEP_3) | instid1(SALU_CYCLE_1)
	v_fma_f64 v[23:24], v[25:26], s[6:7], v[31:32]
	s_mov_b32 s6, 0x67e58a13
	s_mov_b32 s7, 0x3e205c13
	s_delay_alu instid0(VALU_DEP_3) | instskip(NEXT) | instid1(VALU_DEP_3)
	v_add_f64 v[14:15], v[14:15], v[17:18]
	v_fma_f64 v[17:18], v[12:13], v[19:20], -v[27:28]
	s_delay_alu instid0(VALU_DEP_3) | instskip(NEXT) | instid1(VALU_DEP_3)
	v_add_f64 v[25:26], v[29:30], v[23:24]
	v_add_f64 v[27:28], v[21:22], v[14:15]
	s_delay_alu instid0(VALU_DEP_3) | instskip(SKIP_2) | instid1(VALU_DEP_3)
	v_add_f64 v[17:18], v[17:18], s[6:7]
	s_mov_b32 s6, 0xe7f95efc
	s_mov_b32 s7, 0x3e9102bc
	v_add_f64 v[29:30], v[25:26], -v[29:30]
	s_delay_alu instid0(VALU_DEP_3) | instskip(NEXT) | instid1(VALU_DEP_3)
	v_add_f64 v[31:32], v[25:26], v[27:28]
	v_fma_f64 v[19:20], v[12:13], v[17:18], -v[19:20]
	v_add_f64 v[21:22], v[27:28], -v[21:22]
	s_delay_alu instid0(VALU_DEP_4) | instskip(NEXT) | instid1(VALU_DEP_4)
	v_add_f64 v[23:24], v[23:24], -v[29:30]
	v_add_f64 v[33:34], v[31:32], -v[25:26]
	s_delay_alu instid0(VALU_DEP_4) | instskip(NEXT) | instid1(VALU_DEP_4)
	v_add_f64 v[19:20], v[19:20], s[6:7]
	v_add_f64 v[14:15], v[14:15], -v[21:22]
	s_mov_b32 s6, 0xfe8cfca0
	s_mov_b32 s7, 0x3ef7f900
	s_delay_alu instid0(VALU_DEP_3) | instskip(NEXT) | instid1(VALU_DEP_3)
	v_add_f64 v[35:36], v[31:32], -v[33:34]
	v_fma_f64 v[17:18], v[12:13], v[19:20], -v[17:18]
	v_add_f64 v[21:22], v[27:28], -v[33:34]
	s_delay_alu instid0(VALU_DEP_4) | instskip(NEXT) | instid1(VALU_DEP_4)
	v_add_f64 v[27:28], v[23:24], v[14:15]
	v_add_f64 v[25:26], v[25:26], -v[35:36]
	s_delay_alu instid0(VALU_DEP_4) | instskip(SKIP_2) | instid1(VALU_DEP_2)
	v_add_f64 v[17:18], v[17:18], s[6:7]
	s_mov_b32 s6, 0x75633d73
	s_mov_b32 s7, 0x3f54b82e
	v_add_f64 v[21:22], v[21:22], v[25:26]
	s_delay_alu instid0(VALU_DEP_2) | instskip(SKIP_1) | instid1(VALU_DEP_3)
	v_fma_f64 v[19:20], v[12:13], v[17:18], -v[19:20]
	v_add_f64 v[25:26], v[27:28], -v[23:24]
	v_add_f64 v[21:22], v[27:28], v[21:22]
	s_delay_alu instid0(VALU_DEP_3) | instskip(NEXT) | instid1(VALU_DEP_3)
	v_add_f64 v[19:20], v[19:20], s[6:7]
	v_add_f64 v[27:28], v[27:28], -v[25:26]
	v_add_f64 v[14:15], v[14:15], -v[25:26]
	s_mov_b32 s6, 0x554a9085
	s_mov_b32 s7, 0x3fa26bf6
	s_delay_alu instid0(VALU_DEP_4) | instskip(NEXT) | instid1(VALU_DEP_4)
	v_add_f64 v[29:30], v[31:32], v[21:22]
	v_fma_f64 v[17:18], v[12:13], v[19:20], -v[17:18]
	s_delay_alu instid0(VALU_DEP_4) | instskip(NEXT) | instid1(VALU_DEP_3)
	v_add_f64 v[23:24], v[23:24], -v[27:28]
	v_add_f64 v[25:26], v[29:30], -v[31:32]
	s_delay_alu instid0(VALU_DEP_3) | instskip(NEXT) | instid1(VALU_DEP_3)
	v_add_f64 v[17:18], v[17:18], s[6:7]
	v_add_f64 v[14:15], v[14:15], v[23:24]
	s_mov_b32 s6, 0x81213db9
	s_mov_b32 s7, 0x3fd608d8
	s_delay_alu instid0(VALU_DEP_3) | instskip(NEXT) | instid1(VALU_DEP_3)
	v_add_f64 v[21:22], v[21:22], -v[25:26]
	v_fma_f64 v[19:20], v[12:13], v[17:18], -v[19:20]
	s_delay_alu instid0(VALU_DEP_2) | instskip(NEXT) | instid1(VALU_DEP_2)
	v_add_f64 v[14:15], v[14:15], v[21:22]
	v_add_f64 v[19:20], v[19:20], s[6:7]
	s_mov_b32 s6, 0xe9d2f61f
	s_mov_b32 s7, 0xbfe12166
	s_delay_alu instid0(VALU_DEP_2) | instskip(NEXT) | instid1(VALU_DEP_2)
	v_add_f64 v[14:15], v[29:30], v[14:15]
	v_fma_f64 v[12:13], v[12:13], v[19:20], -v[17:18]
	s_delay_alu instid0(VALU_DEP_2) | instskip(SKIP_1) | instid1(VALU_DEP_3)
	v_dual_cndmask_b32 v14, v14, v4 :: v_dual_cndmask_b32 v15, v15, v5
	v_cmp_neq_f64_e32 vcc_lo, 0, v[4:5]
	v_add_f64 v[4:5], v[12:13], s[6:7]
	s_delay_alu instid0(VALU_DEP_3) | instskip(NEXT) | instid1(VALU_DEP_4)
	v_cndmask_b32_e32 v12, 0, v14, vcc_lo
	v_cndmask_b32_e32 v13, 0xfff00000, v15, vcc_lo
	s_delay_alu instid0(VALU_DEP_3) | instskip(NEXT) | instid1(VALU_DEP_2)
	v_add_f64 v[4:5], v[4:5], -v[17:18]
	v_mul_f64 v[10:11], v[12:13], v[10:11]
                                        ; implicit-def: $vgpr12_vgpr13
	s_delay_alu instid0(VALU_DEP_1)
	v_fma_f64 v[4:5], v[4:5], 0.5, -v[10:11]
.LBB1_20:
	s_and_not1_saveexec_b32 s5, s5
	s_cbranch_execz .LBB1_22
; %bb.21:
	v_div_scale_f64 v[4:5], null, v[12:13], v[12:13], 0x40200000
	v_div_scale_f64 v[17:18], vcc_lo, 0x40200000, v[12:13], 0x40200000
	s_mov_b32 s6, 0x93812603
	s_mov_b32 s7, 0xbc72fecc
	;; [unrolled: 1-line block ×4, first 2 shown]
	v_cmp_nlt_f64_e64 s0, 0x4090cc00, v[12:13]
	s_delay_alu instid0(VALU_DEP_3) | instskip(SKIP_2) | instid1(VALU_DEP_1)
	v_rcp_f64_e32 v[10:11], v[4:5]
	s_waitcnt_depctr 0xfff
	v_fma_f64 v[14:15], -v[4:5], v[10:11], 1.0
	v_fma_f64 v[10:11], v[10:11], v[14:15], v[10:11]
	s_delay_alu instid0(VALU_DEP_1) | instskip(NEXT) | instid1(VALU_DEP_1)
	v_fma_f64 v[14:15], -v[4:5], v[10:11], 1.0
	v_fma_f64 v[10:11], v[10:11], v[14:15], v[10:11]
	s_delay_alu instid0(VALU_DEP_1) | instskip(NEXT) | instid1(VALU_DEP_1)
	v_mul_f64 v[14:15], v[17:18], v[10:11]
	v_fma_f64 v[4:5], -v[4:5], v[14:15], v[17:18]
	s_delay_alu instid0(VALU_DEP_1) | instskip(SKIP_1) | instid1(VALU_DEP_2)
	v_div_fmas_f64 v[4:5], v[4:5], v[10:11], v[14:15]
	v_cmp_gt_f64_e32 vcc_lo, 0x10000000, v[12:13]
	v_div_fixup_f64 v[4:5], v[4:5], v[12:13], 0x40200000
	v_cndmask_b32_e64 v23, 0, 1, vcc_lo
	s_delay_alu instid0(VALU_DEP_1) | instskip(NEXT) | instid1(VALU_DEP_1)
	v_lshlrev_b32_e32 v23, 8, v23
	v_ldexp_f64 v[23:24], v[12:13], v23
	s_delay_alu instid0(VALU_DEP_4) | instskip(NEXT) | instid1(VALU_DEP_2)
	v_add_f64 v[4:5], v[4:5], -2.0
	v_rsq_f64_e32 v[25:26], v[23:24]
	s_delay_alu instid0(VALU_DEP_1)
	v_fma_f64 v[10:11], v[4:5], s[8:9], s[6:7]
	s_mov_b32 s9, 0xbc5871a5
	s_mov_b32 s6, 0x41a8cdf4
	;; [unrolled: 1-line block ×3, first 2 shown]
	s_waitcnt_depctr 0xfff
	v_mul_f64 v[27:28], v[23:24], v[25:26]
	v_mul_f64 v[25:26], v[25:26], 0.5
	v_fma_f64 v[14:15], v[4:5], v[10:11], s[8:9]
	s_mov_b32 s8, 0x6a5dcb37
	s_mov_b32 s9, 0x3e5ade15
	s_delay_alu instid0(VALU_DEP_2) | instskip(NEXT) | instid1(VALU_DEP_2)
	v_fma_f64 v[29:30], -v[25:26], v[27:28], 0.5
	v_add_f64 v[14:15], v[14:15], s[6:7]
	s_mov_b32 s6, 0x74d77641
	s_mov_b32 s7, 0xbca82f94
	s_delay_alu instid0(VALU_DEP_2) | instskip(SKIP_1) | instid1(VALU_DEP_3)
	v_fma_f64 v[27:28], v[27:28], v[29:30], v[27:28]
	v_fma_f64 v[25:26], v[25:26], v[29:30], v[25:26]
	v_fma_f64 v[10:11], v[4:5], v[14:15], -v[10:11]
	s_delay_alu instid0(VALU_DEP_3) | instskip(NEXT) | instid1(VALU_DEP_2)
	v_fma_f64 v[29:30], -v[27:28], v[27:28], v[23:24]
	v_add_f64 v[10:11], v[10:11], s[6:7]
	s_mov_b32 s6, 0x6b94785b
	s_mov_b32 s7, 0x3cc3dbf9
	s_delay_alu instid0(VALU_DEP_1) | instskip(NEXT) | instid1(VALU_DEP_1)
	v_fma_f64 v[14:15], v[4:5], v[10:11], -v[14:15]
	v_add_f64 v[14:15], v[14:15], s[6:7]
	s_mov_b32 s6, 0xecfadd36
	s_mov_b32 s7, 0xbce0a690
	s_delay_alu instid0(VALU_DEP_1) | instskip(NEXT) | instid1(VALU_DEP_1)
	v_fma_f64 v[10:11], v[4:5], v[14:15], -v[10:11]
	;; [unrolled: 5-line block ×14, first 2 shown]
	v_add_f64 v[10:11], v[10:11], s[6:7]
	s_mov_b32 s6, 0x652b82fe
	s_mov_b32 s7, 0xbff71547
	s_delay_alu instid0(SALU_CYCLE_1) | instskip(SKIP_2) | instid1(VALU_DEP_2)
	v_mul_f64 v[17:18], v[12:13], s[6:7]
	s_mov_b32 s6, 0x81e3e46f
	s_mov_b32 s7, 0x3e929159
	v_fma_f64 v[14:15], v[4:5], v[10:11], -v[14:15]
	s_delay_alu instid0(VALU_DEP_2) | instskip(NEXT) | instid1(VALU_DEP_2)
	v_rndne_f64_e32 v[17:18], v[17:18]
	v_add_f64 v[14:15], v[14:15], s[6:7]
	s_mov_b32 s6, 0xfefa39ef
	s_mov_b32 s7, 0xbfe62e42
	s_delay_alu instid0(VALU_DEP_2) | instid1(SALU_CYCLE_1)
	v_fma_f64 v[19:20], v[17:18], s[6:7], -v[12:13]
	s_mov_b32 s6, 0x3b39803f
	s_mov_b32 s7, 0xbc7abc9e
	v_cndmask_b32_e64 v12, 0, 0xffffff80, vcc_lo
	v_cmp_class_f64_e64 vcc_lo, v[23:24], 0x260
	s_delay_alu instid0(VALU_DEP_4) | instskip(NEXT) | instid1(VALU_DEP_4)
	v_fma_f64 v[10:11], v[4:5], v[14:15], -v[10:11]
	v_fma_f64 v[19:20], v[17:18], s[6:7], v[19:20]
	s_mov_b32 s6, 0x7f18d3a9
	s_mov_b32 s7, 0xbebebb54
	s_delay_alu instid0(VALU_DEP_2) | instid1(SALU_CYCLE_1)
	v_add_f64 v[10:11], v[10:11], s[6:7]
	s_mov_b32 s6, 0xfca7ab0c
	s_mov_b32 s7, 0x3e928af3
	s_delay_alu instid0(VALU_DEP_2) | instid1(SALU_CYCLE_1)
	v_fma_f64 v[21:22], v[19:20], s[8:9], s[6:7]
	s_mov_b32 s6, 0x623fde64
	s_mov_b32 s7, 0x3ec71dee
	s_delay_alu instid0(VALU_DEP_2) | instskip(NEXT) | instid1(VALU_DEP_2)
	v_fma_f64 v[14:15], v[4:5], v[10:11], -v[14:15]
	v_fma_f64 v[21:22], v[19:20], v[21:22], s[6:7]
	s_mov_b32 s6, 0xcc7470a9
	s_mov_b32 s7, 0x3eed413f
	s_delay_alu instid0(VALU_DEP_2) | instid1(SALU_CYCLE_1)
	v_add_f64 v[14:15], v[14:15], s[6:7]
	s_mov_b32 s6, 0x7c89e6b0
	s_mov_b32 s7, 0x3efa0199
	s_delay_alu instid0(VALU_DEP_2) | instid1(SALU_CYCLE_1)
	v_fma_f64 v[21:22], v[19:20], v[21:22], s[6:7]
	s_mov_b32 s6, 0x14761f6e
	s_mov_b32 s7, 0x3f2a01a0
	s_delay_alu instid0(VALU_DEP_2) | instskip(NEXT) | instid1(VALU_DEP_2)
	;; [unrolled: 13-line block ×4, first 2 shown]
	v_fma_f64 v[10:11], v[4:5], v[14:15], -v[10:11]
	v_fma_f64 v[21:22], v[19:20], v[21:22], s[6:7]
	s_mov_b32 s6, 0x2d4ff71e
	s_mov_b32 s7, 0xbfa019f7
	s_delay_alu instid0(VALU_DEP_2) | instid1(SALU_CYCLE_1)
	v_add_f64 v[10:11], v[10:11], s[6:7]
	s_mov_b32 s6, 11
	s_mov_b32 s7, 0x3fe00000
	s_delay_alu instid0(VALU_DEP_2) | instid1(SALU_CYCLE_1)
	v_fma_f64 v[21:22], v[19:20], v[21:22], s[6:7]
	s_mov_b32 s6, 0x9f4e6907
	s_mov_b32 s7, 0x400385bd
	s_delay_alu instid0(VALU_DEP_2) | instskip(SKIP_2) | instid1(VALU_DEP_4)
	v_fma_f64 v[4:5], v[4:5], v[10:11], -v[14:15]
	v_fma_f64 v[10:11], v[29:30], v[25:26], v[27:28]
	v_cvt_i32_f64_e32 v27, v[17:18]
	v_fma_f64 v[21:22], v[19:20], v[21:22], 1.0
	s_delay_alu instid0(VALU_DEP_4) | instskip(NEXT) | instid1(VALU_DEP_4)
	v_add_f64 v[4:5], v[4:5], s[6:7]
	v_fma_f64 v[17:18], -v[10:11], v[10:11], v[23:24]
	s_delay_alu instid0(VALU_DEP_3) | instskip(NEXT) | instid1(VALU_DEP_3)
	v_fma_f64 v[19:20], v[19:20], v[21:22], 1.0
	v_add_f64 v[4:5], v[4:5], -v[14:15]
	s_delay_alu instid0(VALU_DEP_3) | instskip(NEXT) | instid1(VALU_DEP_3)
	v_fma_f64 v[10:11], v[17:18], v[25:26], v[10:11]
	v_ldexp_f64 v[14:15], v[19:20], v27
	s_delay_alu instid0(VALU_DEP_3) | instskip(NEXT) | instid1(VALU_DEP_3)
	v_mul_f64 v[4:5], v[4:5], 0.5
	v_ldexp_f64 v[10:11], v[10:11], v12
	s_delay_alu instid0(VALU_DEP_3) | instskip(NEXT) | instid1(VALU_DEP_4)
	v_cndmask_b32_e64 v13, 0, v15, s0
	v_cndmask_b32_e64 v12, 0, v14, s0
	s_delay_alu instid0(VALU_DEP_1) | instskip(NEXT) | instid1(VALU_DEP_4)
	v_mul_f64 v[4:5], v[12:13], v[4:5]
	v_dual_cndmask_b32 v11, v11, v24 :: v_dual_cndmask_b32 v10, v10, v23
	s_delay_alu instid0(VALU_DEP_1) | instskip(NEXT) | instid1(VALU_DEP_1)
	v_div_scale_f64 v[12:13], null, v[10:11], v[10:11], v[4:5]
	v_rcp_f64_e32 v[14:15], v[12:13]
	s_waitcnt_depctr 0xfff
	v_fma_f64 v[17:18], -v[12:13], v[14:15], 1.0
	s_delay_alu instid0(VALU_DEP_1) | instskip(NEXT) | instid1(VALU_DEP_1)
	v_fma_f64 v[14:15], v[14:15], v[17:18], v[14:15]
	v_fma_f64 v[17:18], -v[12:13], v[14:15], 1.0
	s_delay_alu instid0(VALU_DEP_1) | instskip(SKIP_1) | instid1(VALU_DEP_1)
	v_fma_f64 v[14:15], v[14:15], v[17:18], v[14:15]
	v_div_scale_f64 v[17:18], vcc_lo, v[4:5], v[10:11], v[4:5]
	v_mul_f64 v[19:20], v[17:18], v[14:15]
	s_delay_alu instid0(VALU_DEP_1) | instskip(NEXT) | instid1(VALU_DEP_1)
	v_fma_f64 v[12:13], -v[12:13], v[19:20], v[17:18]
	v_div_fmas_f64 v[12:13], v[12:13], v[14:15], v[19:20]
	s_delay_alu instid0(VALU_DEP_1)
	v_div_fixup_f64 v[4:5], v[12:13], v[10:11], v[4:5]
.LBB1_22:
	s_or_b32 exec_lo, exec_lo, s5
.LBB1_23:
	s_delay_alu instid0(SALU_CYCLE_1)
	s_or_b32 exec_lo, exec_lo, s4
.LBB1_24:
	s_delay_alu instid0(SALU_CYCLE_1) | instskip(SKIP_2) | instid1(VALU_DEP_2)
	s_or_b32 exec_lo, exec_lo, s1
	v_mov_b32_e32 v12, 0
	v_mov_b32_e32 v13, 0x7ff00000
	;; [unrolled: 1-line block ×3, first 2 shown]
	s_mov_b32 s1, exec_lo
	s_delay_alu instid0(VALU_DEP_2)
	v_mov_b32_e32 v11, v13
	s_waitcnt vmcnt(0) lgkmcnt(0)
	v_cmpx_neq_f64_e32 0, v[6:7]
	s_cbranch_execz .LBB1_36
; %bb.25:
	v_mov_b32_e32 v10, 0
	v_mov_b32_e32 v11, 0x7ff80000
	s_mov_b32 s4, exec_lo
	v_cmpx_ngt_f64_e32 0, v[6:7]
	s_cbranch_execz .LBB1_35
; %bb.26:
	s_mov_b32 s0, exec_lo
	v_cmpx_ge_f64_e32 2.0, v[6:7]
	s_xor_b32 s5, exec_lo, s0
	s_cbranch_execz .LBB1_32
; %bb.27:
	v_mul_f64 v[10:11], v[6:7], 0.5
	s_mov_b32 s0, exec_lo
                                        ; implicit-def: $vgpr14_vgpr15
	v_cmpx_ge_f64_e32 0x40200000, v[6:7]
	s_xor_b32 s0, exec_lo, s0
	s_cbranch_execz .LBB1_29
; %bb.28:
	s_delay_alu instid0(VALU_DEP_2)
	v_add_f64 v[14:15], v[10:11], -2.0
	s_mov_b32 s6, 0x977da589
	s_mov_b32 s7, 0x3c833362
	;; [unrolled: 1-line block ×4, first 2 shown]
	v_cmp_nlt_f64_e32 vcc_lo, 0x40900000, v[6:7]
	s_delay_alu instid0(VALU_DEP_2) | instskip(SKIP_3) | instid1(VALU_DEP_1)
	v_fma_f64 v[17:18], v[14:15], s[8:9], s[6:7]
	s_mov_b32 s9, 0x3c545cb7
	s_mov_b32 s6, 0x721ebbb4
	;; [unrolled: 1-line block ×3, first 2 shown]
	v_fma_f64 v[19:20], v[14:15], v[17:18], s[8:9]
	s_mov_b32 s8, 0x6a5dcb37
	s_mov_b32 s9, 0x3e5ade15
	s_delay_alu instid0(VALU_DEP_1) | instskip(SKIP_2) | instid1(VALU_DEP_1)
	v_add_f64 v[19:20], v[19:20], s[6:7]
	s_mov_b32 s6, 0x93f65eba
	s_mov_b32 s7, 0x3cdee6d8
	v_fma_f64 v[17:18], v[14:15], v[19:20], -v[17:18]
	s_delay_alu instid0(VALU_DEP_1) | instskip(SKIP_2) | instid1(VALU_DEP_1)
	v_add_f64 v[17:18], v[17:18], s[6:7]
	s_mov_b32 s6, 0xc297fbeb
	s_mov_b32 s7, 0xbd0a5022
	v_fma_f64 v[19:20], v[14:15], v[17:18], -v[19:20]
	;; [unrolled: 5-line block ×20, first 2 shown]
	s_delay_alu instid0(VALU_DEP_1) | instskip(SKIP_2) | instid1(SALU_CYCLE_1)
	v_add_f64 v[19:20], v[19:20], s[6:7]
	s_mov_b32 s6, 0x652b82fe
	s_mov_b32 s7, 0x3ff71547
	v_mul_f64 v[21:22], v[6:7], s[6:7]
	s_mov_b32 s6, 0xf3dde3dd
	s_mov_b32 s7, 0x3f859961
	s_delay_alu instid0(VALU_DEP_2) | instskip(NEXT) | instid1(VALU_DEP_2)
	v_fma_f64 v[17:18], v[14:15], v[19:20], -v[17:18]
	v_rndne_f64_e32 v[21:22], v[21:22]
	s_delay_alu instid0(VALU_DEP_2)
	v_add_f64 v[17:18], v[17:18], s[6:7]
	s_mov_b32 s6, 0xfefa39ef
	s_mov_b32 s7, 0xbfe62e42
	s_delay_alu instid0(VALU_DEP_2) | instid1(SALU_CYCLE_1)
	v_fma_f64 v[23:24], v[21:22], s[6:7], v[6:7]
	s_mov_b32 s6, 0x3b39803f
	s_mov_b32 s7, 0xbc7abc9e
	s_delay_alu instid0(VALU_DEP_2) | instskip(NEXT) | instid1(VALU_DEP_2)
	v_fma_f64 v[19:20], v[14:15], v[17:18], -v[19:20]
	v_fma_f64 v[23:24], v[21:22], s[6:7], v[23:24]
	s_mov_b32 s6, 0xf121b6f0
	s_mov_b32 s7, 0xbf984e9e
	v_cvt_i32_f64_e32 v21, v[21:22]
	s_delay_alu instid0(VALU_DEP_3)
	v_add_f64 v[19:20], v[19:20], s[6:7]
	s_mov_b32 s6, 0xfca7ab0c
	s_mov_b32 s7, 0x3e928af3
	s_delay_alu instid0(VALU_DEP_3) | instid1(SALU_CYCLE_1)
	v_fma_f64 v[25:26], v[23:24], s[8:9], s[6:7]
	s_mov_b32 s6, 0x623fde64
	s_mov_b32 s7, 0x3ec71dee
	s_delay_alu instid0(VALU_DEP_2) | instskip(NEXT) | instid1(VALU_DEP_2)
	v_fma_f64 v[17:18], v[14:15], v[19:20], -v[17:18]
	v_fma_f64 v[25:26], v[23:24], v[25:26], s[6:7]
	s_mov_b32 s6, 0xcea8a32d
	s_mov_b32 s7, 0x3fa93e8a
	s_delay_alu instid0(VALU_DEP_2) | instid1(SALU_CYCLE_1)
	v_add_f64 v[17:18], v[17:18], s[6:7]
	s_mov_b32 s6, 0x7c89e6b0
	s_mov_b32 s7, 0x3efa0199
	s_delay_alu instid0(VALU_DEP_2) | instid1(SALU_CYCLE_1)
	v_fma_f64 v[25:26], v[23:24], v[25:26], s[6:7]
	s_mov_b32 s6, 0x14761f6e
	s_mov_b32 s7, 0x3f2a01a0
	s_delay_alu instid0(VALU_DEP_2) | instskip(NEXT) | instid1(VALU_DEP_2)
	v_fma_f64 v[19:20], v[14:15], v[17:18], -v[19:20]
	v_fma_f64 v[25:26], v[23:24], v[25:26], s[6:7]
	s_mov_b32 s6, 0x342d06ea
	s_mov_b32 s7, 0xbfb84b70
	s_delay_alu instid0(VALU_DEP_2) | instid1(SALU_CYCLE_1)
	v_add_f64 v[19:20], v[19:20], s[6:7]
	s_mov_b32 s6, 0x1852b7b0
	s_mov_b32 s7, 0x3f56c16c
	s_delay_alu instid0(VALU_DEP_2) | instid1(SALU_CYCLE_1)
	;; [unrolled: 13-line block ×4, first 2 shown]
	v_fma_f64 v[25:26], v[23:24], v[25:26], s[6:7]
	s_mov_b32 s6, 0x9035a22a
	s_mov_b32 s7, 0x3fe5a84e
	s_delay_alu instid0(VALU_DEP_2) | instskip(NEXT) | instid1(VALU_DEP_2)
	v_fma_f64 v[14:15], v[14:15], v[19:20], -v[17:18]
	v_fma_f64 v[19:20], v[23:24], v[25:26], 1.0
	s_delay_alu instid0(VALU_DEP_2) | instskip(NEXT) | instid1(VALU_DEP_2)
	v_add_f64 v[14:15], v[14:15], s[6:7]
	v_fma_f64 v[19:20], v[23:24], v[19:20], 1.0
	s_delay_alu instid0(VALU_DEP_2) | instskip(NEXT) | instid1(VALU_DEP_2)
	v_add_f64 v[14:15], v[14:15], -v[17:18]
	v_ldexp_f64 v[17:18], v[19:20], v21
	s_delay_alu instid0(VALU_DEP_2) | instskip(NEXT) | instid1(VALU_DEP_2)
	v_mul_f64 v[14:15], v[14:15], 0.5
	v_cndmask_b32_e32 v18, 0x7ff00000, v18, vcc_lo
	s_delay_alu instid0(VALU_DEP_3) | instskip(NEXT) | instid1(VALU_DEP_1)
	v_cndmask_b32_e32 v17, 0, v17, vcc_lo
	v_mul_f64 v[14:15], v[17:18], v[14:15]
.LBB1_29:
	s_and_not1_saveexec_b32 s6, s0
	s_cbranch_execz .LBB1_31
; %bb.30:
	v_div_scale_f64 v[14:15], null, v[6:7], v[6:7], 0x40400000
	v_div_scale_f64 v[21:22], vcc_lo, 0x40400000, v[6:7], 0x40400000
	s_mov_b32 s8, 0x66119130
	s_mov_b32 s9, 0xbc5646da
	;; [unrolled: 1-line block ×4, first 2 shown]
	v_cmp_nlt_f64_e64 s0, 0x40900000, v[6:7]
	s_delay_alu instid0(VALU_DEP_3) | instskip(SKIP_2) | instid1(VALU_DEP_1)
	v_rcp_f64_e32 v[17:18], v[14:15]
	s_waitcnt_depctr 0xfff
	v_fma_f64 v[19:20], -v[14:15], v[17:18], 1.0
	v_fma_f64 v[17:18], v[17:18], v[19:20], v[17:18]
	s_delay_alu instid0(VALU_DEP_1) | instskip(NEXT) | instid1(VALU_DEP_1)
	v_fma_f64 v[19:20], -v[14:15], v[17:18], 1.0
	v_fma_f64 v[17:18], v[17:18], v[19:20], v[17:18]
	s_delay_alu instid0(VALU_DEP_1) | instskip(NEXT) | instid1(VALU_DEP_1)
	v_mul_f64 v[19:20], v[21:22], v[17:18]
	v_fma_f64 v[14:15], -v[14:15], v[19:20], v[21:22]
	s_delay_alu instid0(VALU_DEP_1) | instskip(SKIP_1) | instid1(VALU_DEP_2)
	v_div_fmas_f64 v[14:15], v[14:15], v[17:18], v[19:20]
	v_cmp_gt_f64_e32 vcc_lo, 0x10000000, v[6:7]
	v_div_fixup_f64 v[14:15], v[14:15], v[6:7], 0x40400000
	v_cndmask_b32_e64 v27, 0, 1, vcc_lo
	s_delay_alu instid0(VALU_DEP_1) | instskip(NEXT) | instid1(VALU_DEP_1)
	v_lshlrev_b32_e32 v27, 8, v27
	v_ldexp_f64 v[27:28], v[6:7], v27
	s_delay_alu instid0(VALU_DEP_4) | instskip(NEXT) | instid1(VALU_DEP_2)
	v_add_f64 v[14:15], v[14:15], -2.0
	v_rsq_f64_e32 v[29:30], v[27:28]
	s_delay_alu instid0(VALU_DEP_1)
	v_fma_f64 v[17:18], v[14:15], s[10:11], s[8:9]
	s_mov_b32 s11, 0x3c60adb7
	s_mov_b32 s8, 0x12d98421
	;; [unrolled: 1-line block ×3, first 2 shown]
	s_waitcnt_depctr 0xfff
	v_mul_f64 v[31:32], v[27:28], v[29:30]
	v_mul_f64 v[29:30], v[29:30], 0.5
	v_fma_f64 v[19:20], v[14:15], v[17:18], s[10:11]
	s_mov_b32 s10, 0x6a5dcb37
	s_mov_b32 s11, 0x3e5ade15
	s_delay_alu instid0(VALU_DEP_2) | instskip(NEXT) | instid1(VALU_DEP_2)
	v_fma_f64 v[33:34], -v[29:30], v[31:32], 0.5
	v_add_f64 v[19:20], v[19:20], s[8:9]
	s_mov_b32 s8, 0x76041cd
	s_mov_b32 s9, 0x3c83f3dd
	s_delay_alu instid0(VALU_DEP_2) | instskip(SKIP_1) | instid1(VALU_DEP_3)
	v_fma_f64 v[31:32], v[31:32], v[33:34], v[31:32]
	v_fma_f64 v[29:30], v[29:30], v[33:34], v[29:30]
	v_fma_f64 v[17:18], v[14:15], v[19:20], -v[17:18]
	s_delay_alu instid0(VALU_DEP_3) | instskip(NEXT) | instid1(VALU_DEP_2)
	v_fma_f64 v[33:34], -v[31:32], v[31:32], v[27:28]
	v_add_f64 v[17:18], v[17:18], s[8:9]
	s_mov_b32 s8, 0xabd21fe4
	s_mov_b32 s9, 0xbcb4600b
	s_delay_alu instid0(VALU_DEP_1) | instskip(NEXT) | instid1(VALU_DEP_1)
	v_fma_f64 v[19:20], v[14:15], v[17:18], -v[19:20]
	v_add_f64 v[19:20], v[19:20], s[8:9]
	s_mov_b32 s8, 0xd908de38
	s_mov_b32 s9, 0xbcb8aee7
	s_delay_alu instid0(VALU_DEP_1) | instskip(NEXT) | instid1(VALU_DEP_1)
	v_fma_f64 v[17:18], v[14:15], v[19:20], -v[17:18]
	;; [unrolled: 5-line block ×14, first 2 shown]
	v_add_f64 v[17:18], v[17:18], s[8:9]
	s_mov_b32 s8, 0x652b82fe
	s_mov_b32 s9, 0x3ff71547
	s_delay_alu instid0(SALU_CYCLE_1) | instskip(SKIP_2) | instid1(VALU_DEP_2)
	v_mul_f64 v[21:22], v[6:7], s[8:9]
	s_mov_b32 s8, 0xa9225b87
	s_mov_b32 s9, 0x3e2d2c64
	v_fma_f64 v[19:20], v[14:15], v[17:18], -v[19:20]
	s_delay_alu instid0(VALU_DEP_2) | instskip(NEXT) | instid1(VALU_DEP_2)
	v_rndne_f64_e32 v[21:22], v[21:22]
	v_add_f64 v[19:20], v[19:20], s[8:9]
	s_mov_b32 s8, 0xfefa39ef
	s_mov_b32 s9, 0xbfe62e42
	s_delay_alu instid0(VALU_DEP_2) | instid1(SALU_CYCLE_1)
	v_fma_f64 v[23:24], v[21:22], s[8:9], v[6:7]
	s_mov_b32 s8, 0x3b39803f
	s_mov_b32 s9, 0xbc7abc9e
	s_delay_alu instid0(VALU_DEP_2) | instskip(NEXT) | instid1(VALU_DEP_2)
	v_fma_f64 v[17:18], v[14:15], v[19:20], -v[17:18]
	v_fma_f64 v[23:24], v[21:22], s[8:9], v[23:24]
	s_mov_b32 s8, 0x80d6d56d
	s_mov_b32 s9, 0x3e585692
	s_delay_alu instid0(VALU_DEP_2) | instid1(SALU_CYCLE_1)
	v_add_f64 v[17:18], v[17:18], s[8:9]
	s_mov_b32 s8, 0xfca7ab0c
	s_mov_b32 s9, 0x3e928af3
	s_delay_alu instid0(VALU_DEP_2) | instid1(SALU_CYCLE_1)
	v_fma_f64 v[25:26], v[23:24], s[10:11], s[8:9]
	s_mov_b32 s8, 0x623fde64
	s_mov_b32 s9, 0x3ec71dee
	s_delay_alu instid0(VALU_DEP_2) | instskip(NEXT) | instid1(VALU_DEP_2)
	v_fma_f64 v[19:20], v[14:15], v[17:18], -v[19:20]
	v_fma_f64 v[25:26], v[23:24], v[25:26], s[8:9]
	s_mov_b32 s8, 0xd9cd616e
	s_mov_b32 s9, 0x3e8b8007
	s_delay_alu instid0(VALU_DEP_2) | instid1(SALU_CYCLE_1)
	v_add_f64 v[19:20], v[19:20], s[8:9]
	s_mov_b32 s8, 0x7c89e6b0
	s_mov_b32 s9, 0x3efa0199
	s_delay_alu instid0(VALU_DEP_2) | instid1(SALU_CYCLE_1)
	v_fma_f64 v[25:26], v[23:24], v[25:26], s[8:9]
	s_mov_b32 s8, 0x14761f6e
	s_mov_b32 s9, 0x3f2a01a0
	s_delay_alu instid0(VALU_DEP_2) | instskip(NEXT) | instid1(VALU_DEP_2)
	v_fma_f64 v[17:18], v[14:15], v[19:20], -v[17:18]
	v_fma_f64 v[25:26], v[23:24], v[25:26], s[8:9]
	s_mov_b32 s8, 0xc101c586
	s_mov_b32 s9, 0x3ec8412b
	s_delay_alu instid0(VALU_DEP_2) | instid1(SALU_CYCLE_1)
	v_add_f64 v[17:18], v[17:18], s[8:9]
	s_mov_b32 s8, 0x1852b7b0
	s_mov_b32 s9, 0x3f56c16c
	s_delay_alu instid0(VALU_DEP_2) | instid1(SALU_CYCLE_1)
	v_fma_f64 v[25:26], v[23:24], v[25:26], s[8:9]
	s_mov_b32 s8, 0x11122322
	s_mov_b32 s9, 0x3f811111
	s_delay_alu instid0(VALU_DEP_2) | instskip(NEXT) | instid1(VALU_DEP_2)
	v_fma_f64 v[19:20], v[14:15], v[17:18], -v[19:20]
	v_fma_f64 v[25:26], v[23:24], v[25:26], s[8:9]
	s_mov_b32 s8, 0x78999e52
	s_mov_b32 s9, 0x3f120fa3
	s_delay_alu instid0(VALU_DEP_2) | instid1(SALU_CYCLE_1)
	v_add_f64 v[19:20], v[19:20], s[8:9]
	s_mov_b32 s8, 0x555502a1
	s_mov_b32 s9, 0x3fa55555
	s_delay_alu instid0(VALU_DEP_2) | instid1(SALU_CYCLE_1)
	v_fma_f64 v[25:26], v[23:24], v[25:26], s[8:9]
	s_mov_b32 s8, 0x55555511
	s_mov_b32 s9, 0x3fc55555
	s_delay_alu instid0(VALU_DEP_2) | instskip(NEXT) | instid1(VALU_DEP_2)
	v_fma_f64 v[17:18], v[14:15], v[19:20], -v[17:18]
	v_fma_f64 v[25:26], v[23:24], v[25:26], s[8:9]
	s_mov_b32 s8, 0xa2e59049
	s_mov_b32 s9, 0x3f6b998c
	s_delay_alu instid0(VALU_DEP_2) | instid1(SALU_CYCLE_1)
	v_add_f64 v[17:18], v[17:18], s[8:9]
	s_mov_b32 s8, 11
	s_mov_b32 s9, 0x3fe00000
	s_delay_alu instid0(VALU_DEP_2) | instid1(SALU_CYCLE_1)
	v_fma_f64 v[25:26], v[23:24], v[25:26], s[8:9]
	s_mov_b32 s8, 0xaca809cb
	s_mov_b32 s9, 0x3fe9be62
	s_delay_alu instid0(VALU_DEP_2) | instskip(SKIP_2) | instid1(VALU_DEP_4)
	v_fma_f64 v[14:15], v[14:15], v[17:18], -v[19:20]
	v_fma_f64 v[17:18], v[33:34], v[29:30], v[31:32]
	v_cvt_i32_f64_e32 v31, v[21:22]
	v_fma_f64 v[25:26], v[23:24], v[25:26], 1.0
	s_delay_alu instid0(VALU_DEP_4) | instskip(NEXT) | instid1(VALU_DEP_4)
	v_add_f64 v[14:15], v[14:15], s[8:9]
	v_fma_f64 v[21:22], -v[17:18], v[17:18], v[27:28]
	s_delay_alu instid0(VALU_DEP_3) | instskip(NEXT) | instid1(VALU_DEP_3)
	v_fma_f64 v[23:24], v[23:24], v[25:26], 1.0
	v_add_f64 v[14:15], v[14:15], -v[19:20]
	s_delay_alu instid0(VALU_DEP_3) | instskip(SKIP_4) | instid1(VALU_DEP_4)
	v_fma_f64 v[17:18], v[21:22], v[29:30], v[17:18]
	v_cndmask_b32_e64 v21, 0, 0xffffff80, vcc_lo
	v_cmp_class_f64_e64 vcc_lo, v[27:28], 0x260
	v_ldexp_f64 v[19:20], v[23:24], v31
	v_mul_f64 v[14:15], v[14:15], 0.5
	v_ldexp_f64 v[17:18], v[17:18], v21
	s_delay_alu instid0(VALU_DEP_3) | instskip(NEXT) | instid1(VALU_DEP_4)
	v_cndmask_b32_e64 v20, 0x7ff00000, v20, s0
	v_cndmask_b32_e64 v19, 0, v19, s0
	s_delay_alu instid0(VALU_DEP_1) | instskip(NEXT) | instid1(VALU_DEP_4)
	v_mul_f64 v[14:15], v[19:20], v[14:15]
	v_dual_cndmask_b32 v18, v18, v28 :: v_dual_cndmask_b32 v17, v17, v27
	s_delay_alu instid0(VALU_DEP_1) | instskip(NEXT) | instid1(VALU_DEP_1)
	v_div_scale_f64 v[19:20], null, v[17:18], v[17:18], v[14:15]
	v_rcp_f64_e32 v[21:22], v[19:20]
	s_waitcnt_depctr 0xfff
	v_fma_f64 v[23:24], -v[19:20], v[21:22], 1.0
	s_delay_alu instid0(VALU_DEP_1) | instskip(NEXT) | instid1(VALU_DEP_1)
	v_fma_f64 v[21:22], v[21:22], v[23:24], v[21:22]
	v_fma_f64 v[23:24], -v[19:20], v[21:22], 1.0
	s_delay_alu instid0(VALU_DEP_1) | instskip(SKIP_1) | instid1(VALU_DEP_1)
	v_fma_f64 v[21:22], v[21:22], v[23:24], v[21:22]
	v_div_scale_f64 v[23:24], vcc_lo, v[14:15], v[17:18], v[14:15]
	v_mul_f64 v[25:26], v[23:24], v[21:22]
	s_delay_alu instid0(VALU_DEP_1) | instskip(NEXT) | instid1(VALU_DEP_1)
	v_fma_f64 v[19:20], -v[19:20], v[25:26], v[23:24]
	v_div_fmas_f64 v[19:20], v[19:20], v[21:22], v[25:26]
	s_delay_alu instid0(VALU_DEP_1)
	v_div_fixup_f64 v[14:15], v[19:20], v[17:18], v[14:15]
.LBB1_31:
	s_or_b32 exec_lo, exec_lo, s6
	s_delay_alu instid0(VALU_DEP_2)
	v_frexp_mant_f64_e32 v[17:18], v[10:11]
	s_mov_b32 s7, 0x3fe55555
	s_mov_b32 s6, 0x55555555
	v_mov_b32_e32 v19, 0
	s_mov_b32 s8, 0x6b47b09a
	s_mov_b32 s10, 0xbf559e2b
	s_mov_b32 s9, 0x3fc38538
	s_mov_b32 s11, 0x3fc3ab76
	v_fma_f64 v[6:7], v[6:7], v[6:7], -2.0
	s_delay_alu instid0(VALU_DEP_3) | instskip(SKIP_2) | instid1(VALU_DEP_1)
	v_cmp_gt_f64_e32 vcc_lo, s[6:7], v[17:18]
	s_mov_b32 s6, 0x55555780
	v_cndmask_b32_e64 v20, 0x3ff00000, 2.0, vcc_lo
	v_mul_f64 v[17:18], v[17:18], v[19:20]
	s_delay_alu instid0(VALU_DEP_1) | instskip(SKIP_1) | instid1(VALU_DEP_2)
	v_add_f64 v[19:20], v[17:18], 1.0
	v_add_f64 v[25:26], v[17:18], -1.0
	v_rcp_f64_e32 v[21:22], v[19:20]
	v_add_f64 v[27:28], v[19:20], -1.0
	s_delay_alu instid0(VALU_DEP_1) | instskip(SKIP_2) | instid1(VALU_DEP_1)
	v_add_f64 v[17:18], v[17:18], -v[27:28]
	s_waitcnt_depctr 0xfff
	v_fma_f64 v[23:24], -v[19:20], v[21:22], 1.0
	v_fma_f64 v[21:22], v[23:24], v[21:22], v[21:22]
	s_delay_alu instid0(VALU_DEP_1) | instskip(NEXT) | instid1(VALU_DEP_1)
	v_fma_f64 v[23:24], -v[19:20], v[21:22], 1.0
	v_fma_f64 v[21:22], v[23:24], v[21:22], v[21:22]
	s_delay_alu instid0(VALU_DEP_1) | instskip(NEXT) | instid1(VALU_DEP_1)
	v_mul_f64 v[23:24], v[25:26], v[21:22]
	v_mul_f64 v[29:30], v[19:20], v[23:24]
	s_delay_alu instid0(VALU_DEP_1) | instskip(NEXT) | instid1(VALU_DEP_1)
	v_fma_f64 v[19:20], v[23:24], v[19:20], -v[29:30]
	v_fma_f64 v[17:18], v[23:24], v[17:18], v[19:20]
	s_delay_alu instid0(VALU_DEP_1) | instskip(NEXT) | instid1(VALU_DEP_1)
	v_add_f64 v[19:20], v[29:30], v[17:18]
	v_add_f64 v[27:28], v[25:26], -v[19:20]
	v_add_f64 v[29:30], v[19:20], -v[29:30]
	s_delay_alu instid0(VALU_DEP_2) | instskip(NEXT) | instid1(VALU_DEP_2)
	v_add_f64 v[25:26], v[25:26], -v[27:28]
	v_add_f64 v[17:18], v[29:30], -v[17:18]
	v_frexp_exp_i32_f64_e32 v29, v[10:11]
	s_delay_alu instid0(VALU_DEP_3) | instskip(NEXT) | instid1(VALU_DEP_1)
	v_add_f64 v[19:20], v[25:26], -v[19:20]
	v_add_f64 v[17:18], v[17:18], v[19:20]
	s_delay_alu instid0(VALU_DEP_1) | instskip(NEXT) | instid1(VALU_DEP_1)
	v_add_f64 v[17:18], v[27:28], v[17:18]
	v_mul_f64 v[17:18], v[21:22], v[17:18]
	s_delay_alu instid0(VALU_DEP_1) | instskip(NEXT) | instid1(VALU_DEP_1)
	v_add_f64 v[19:20], v[23:24], v[17:18]
	v_mul_f64 v[21:22], v[19:20], v[19:20]
	s_delay_alu instid0(VALU_DEP_1) | instskip(SKIP_3) | instid1(VALU_DEP_2)
	v_fma_f64 v[25:26], v[21:22], s[10:11], s[8:9]
	s_mov_b32 s8, 0xd7f4df2e
	s_mov_b32 s9, 0x3fc7474d
	v_mul_f64 v[27:28], v[19:20], v[21:22]
	v_fma_f64 v[25:26], v[21:22], v[25:26], s[8:9]
	s_mov_b32 s8, 0x16291751
	s_mov_b32 s9, 0x3fcc71c0
	s_delay_alu instid0(VALU_DEP_1) | instid1(SALU_CYCLE_1)
	v_fma_f64 v[25:26], v[21:22], v[25:26], s[8:9]
	s_mov_b32 s8, 0x9b27acf1
	s_mov_b32 s9, 0x3fd24924
	s_delay_alu instid0(VALU_DEP_1) | instid1(SALU_CYCLE_1)
	;; [unrolled: 4-line block ×3, first 2 shown]
	v_fma_f64 v[25:26], v[21:22], v[25:26], s[8:9]
	s_mov_b32 s9, 0x3ca3cee1
	s_mov_b32 s8, 0xe6a7fd77
	s_delay_alu instid0(VALU_DEP_1) | instskip(SKIP_4) | instid1(VALU_DEP_3)
	v_fma_f64 v[21:22], v[21:22], v[25:26], s[6:7]
	v_ldexp_f64 v[25:26], v[19:20], 1
	v_add_f64 v[19:20], v[19:20], -v[23:24]
	s_mov_b32 s6, 0xc384c2aa
	s_mov_b32 s7, 0x3d27fb0a
	v_mul_f64 v[21:22], v[27:28], v[21:22]
	v_subrev_co_ci_u32_e32 v27, vcc_lo, 0, v29, vcc_lo
	v_fma_f64 v[29:30], v[6:7], s[8:9], s[6:7]
	s_mov_b32 s6, 0xfefa39ef
	s_mov_b32 s7, 0x3fe62e42
	s_delay_alu instid0(VALU_DEP_2) | instskip(SKIP_4) | instid1(VALU_DEP_4)
	v_cvt_f64_i32_e32 v[27:28], v27
	v_add_f64 v[17:18], v[17:18], -v[19:20]
	s_mov_b32 s9, 0xbca3cee1
	v_cmp_eq_f64_e32 vcc_lo, 0x7ff00000, v[10:11]
	v_add_f64 v[23:24], v[25:26], v[21:22]
	v_mul_f64 v[31:32], v[27:28], s[6:7]
	s_delay_alu instid0(VALU_DEP_4) | instskip(NEXT) | instid1(VALU_DEP_3)
	v_ldexp_f64 v[17:18], v[17:18], 1
	v_add_f64 v[19:20], v[23:24], -v[25:26]
	v_fma_f64 v[25:26], v[6:7], v[29:30], s[8:9]
	s_delay_alu instid0(VALU_DEP_4) | instskip(SKIP_2) | instid1(VALU_DEP_3)
	v_fma_f64 v[33:34], v[27:28], s[6:7], -v[31:32]
	s_mov_b32 s6, 0x47512144
	s_mov_b32 s7, 0x3da6c25c
	v_add_f64 v[19:20], v[21:22], -v[19:20]
	s_delay_alu instid0(VALU_DEP_3)
	v_add_f64 v[21:22], v[25:26], s[6:7]
	s_mov_b32 s6, 0x3b39803f
	s_mov_b32 s7, 0x3c7abc9e
	s_delay_alu instid0(VALU_DEP_3) | instid1(SALU_CYCLE_1)
	v_fma_f64 v[25:26], v[27:28], s[6:7], v[33:34]
	s_mov_b32 s6, 0x67e58a13
	s_mov_b32 s7, 0x3e205c13
	s_delay_alu instid0(VALU_DEP_3) | instskip(NEXT) | instid1(VALU_DEP_3)
	v_add_f64 v[17:18], v[17:18], v[19:20]
	v_fma_f64 v[19:20], v[6:7], v[21:22], -v[29:30]
	s_delay_alu instid0(VALU_DEP_3) | instskip(NEXT) | instid1(VALU_DEP_3)
	v_add_f64 v[27:28], v[31:32], v[25:26]
	v_add_f64 v[29:30], v[23:24], v[17:18]
	s_delay_alu instid0(VALU_DEP_3) | instskip(SKIP_2) | instid1(VALU_DEP_3)
	v_add_f64 v[19:20], v[19:20], s[6:7]
	s_mov_b32 s6, 0xe7f95efc
	s_mov_b32 s7, 0x3e9102bc
	v_add_f64 v[31:32], v[27:28], -v[31:32]
	s_delay_alu instid0(VALU_DEP_3) | instskip(NEXT) | instid1(VALU_DEP_3)
	v_add_f64 v[33:34], v[27:28], v[29:30]
	v_fma_f64 v[21:22], v[6:7], v[19:20], -v[21:22]
	v_add_f64 v[23:24], v[29:30], -v[23:24]
	s_delay_alu instid0(VALU_DEP_4) | instskip(NEXT) | instid1(VALU_DEP_4)
	v_add_f64 v[25:26], v[25:26], -v[31:32]
	v_add_f64 v[35:36], v[33:34], -v[27:28]
	s_delay_alu instid0(VALU_DEP_4) | instskip(NEXT) | instid1(VALU_DEP_4)
	v_add_f64 v[21:22], v[21:22], s[6:7]
	v_add_f64 v[17:18], v[17:18], -v[23:24]
	s_mov_b32 s6, 0xfe8cfca0
	s_mov_b32 s7, 0x3ef7f900
	s_delay_alu instid0(VALU_DEP_3) | instskip(NEXT) | instid1(VALU_DEP_3)
	v_add_f64 v[37:38], v[33:34], -v[35:36]
	v_fma_f64 v[19:20], v[6:7], v[21:22], -v[19:20]
	v_add_f64 v[23:24], v[29:30], -v[35:36]
	s_delay_alu instid0(VALU_DEP_4) | instskip(NEXT) | instid1(VALU_DEP_4)
	v_add_f64 v[29:30], v[25:26], v[17:18]
	v_add_f64 v[27:28], v[27:28], -v[37:38]
	s_delay_alu instid0(VALU_DEP_4) | instskip(SKIP_2) | instid1(VALU_DEP_2)
	v_add_f64 v[19:20], v[19:20], s[6:7]
	s_mov_b32 s6, 0x75633d73
	s_mov_b32 s7, 0x3f54b82e
	v_add_f64 v[23:24], v[23:24], v[27:28]
	s_delay_alu instid0(VALU_DEP_2) | instskip(SKIP_1) | instid1(VALU_DEP_3)
	v_fma_f64 v[21:22], v[6:7], v[19:20], -v[21:22]
	v_add_f64 v[27:28], v[29:30], -v[25:26]
	v_add_f64 v[23:24], v[29:30], v[23:24]
	s_delay_alu instid0(VALU_DEP_3) | instskip(NEXT) | instid1(VALU_DEP_3)
	v_add_f64 v[21:22], v[21:22], s[6:7]
	v_add_f64 v[29:30], v[29:30], -v[27:28]
	v_add_f64 v[17:18], v[17:18], -v[27:28]
	s_mov_b32 s6, 0x554a9085
	s_mov_b32 s7, 0x3fa26bf6
	s_delay_alu instid0(VALU_DEP_4) | instskip(NEXT) | instid1(VALU_DEP_4)
	v_add_f64 v[31:32], v[33:34], v[23:24]
	v_fma_f64 v[19:20], v[6:7], v[21:22], -v[19:20]
	s_delay_alu instid0(VALU_DEP_4) | instskip(NEXT) | instid1(VALU_DEP_3)
	v_add_f64 v[25:26], v[25:26], -v[29:30]
	v_add_f64 v[27:28], v[31:32], -v[33:34]
	s_delay_alu instid0(VALU_DEP_3) | instskip(NEXT) | instid1(VALU_DEP_3)
	v_add_f64 v[19:20], v[19:20], s[6:7]
	v_add_f64 v[17:18], v[17:18], v[25:26]
	s_mov_b32 s6, 0x81213db9
	s_mov_b32 s7, 0x3fd608d8
	s_delay_alu instid0(VALU_DEP_3) | instskip(NEXT) | instid1(VALU_DEP_3)
	v_add_f64 v[23:24], v[23:24], -v[27:28]
	v_fma_f64 v[21:22], v[6:7], v[19:20], -v[21:22]
	s_delay_alu instid0(VALU_DEP_2) | instskip(NEXT) | instid1(VALU_DEP_2)
	v_add_f64 v[17:18], v[17:18], v[23:24]
	v_add_f64 v[21:22], v[21:22], s[6:7]
	s_mov_b32 s6, 0xe9d2f61f
	s_mov_b32 s7, 0xbfe12166
	s_delay_alu instid0(VALU_DEP_2) | instskip(NEXT) | instid1(VALU_DEP_2)
	v_add_f64 v[17:18], v[31:32], v[17:18]
	v_fma_f64 v[6:7], v[6:7], v[21:22], -v[19:20]
	s_delay_alu instid0(VALU_DEP_2) | instskip(SKIP_1) | instid1(VALU_DEP_3)
	v_dual_cndmask_b32 v18, v18, v11 :: v_dual_cndmask_b32 v17, v17, v10
	v_cmp_neq_f64_e32 vcc_lo, 0, v[10:11]
	v_add_f64 v[6:7], v[6:7], s[6:7]
	s_delay_alu instid0(VALU_DEP_3) | instskip(NEXT) | instid1(VALU_DEP_4)
	v_cndmask_b32_e32 v11, 0xfff00000, v18, vcc_lo
	v_cndmask_b32_e32 v10, 0, v17, vcc_lo
	s_delay_alu instid0(VALU_DEP_3) | instskip(NEXT) | instid1(VALU_DEP_2)
	v_add_f64 v[6:7], v[6:7], -v[19:20]
	v_mul_f64 v[10:11], v[10:11], v[14:15]
	s_delay_alu instid0(VALU_DEP_1)
	v_fma_f64 v[10:11], v[6:7], 0.5, -v[10:11]
.LBB1_32:
	s_and_not1_saveexec_b32 s5, s5
	s_cbranch_execz .LBB1_34
; %bb.33:
	v_div_scale_f64 v[10:11], null, v[6:7], v[6:7], 0x40200000
	v_div_scale_f64 v[19:20], vcc_lo, 0x40200000, v[6:7], 0x40200000
	s_mov_b32 s6, 0x93812603
	s_mov_b32 s7, 0xbc72fecc
	s_mov_b32 s9, 0x3c5871a5
	s_mov_b32 s8, 0xcf8c9ee1
	v_cmp_nlt_f64_e64 s0, 0x4090cc00, v[6:7]
	s_delay_alu instid0(VALU_DEP_3) | instskip(SKIP_2) | instid1(VALU_DEP_1)
	v_rcp_f64_e32 v[14:15], v[10:11]
	s_waitcnt_depctr 0xfff
	v_fma_f64 v[17:18], -v[10:11], v[14:15], 1.0
	v_fma_f64 v[14:15], v[14:15], v[17:18], v[14:15]
	s_delay_alu instid0(VALU_DEP_1) | instskip(NEXT) | instid1(VALU_DEP_1)
	v_fma_f64 v[17:18], -v[10:11], v[14:15], 1.0
	v_fma_f64 v[14:15], v[14:15], v[17:18], v[14:15]
	s_delay_alu instid0(VALU_DEP_1) | instskip(NEXT) | instid1(VALU_DEP_1)
	v_mul_f64 v[17:18], v[19:20], v[14:15]
	v_fma_f64 v[10:11], -v[10:11], v[17:18], v[19:20]
	s_delay_alu instid0(VALU_DEP_1) | instskip(SKIP_1) | instid1(VALU_DEP_2)
	v_div_fmas_f64 v[10:11], v[10:11], v[14:15], v[17:18]
	v_cmp_gt_f64_e32 vcc_lo, 0x10000000, v[6:7]
	v_div_fixup_f64 v[10:11], v[10:11], v[6:7], 0x40200000
	v_cndmask_b32_e64 v25, 0, 1, vcc_lo
	s_delay_alu instid0(VALU_DEP_1) | instskip(NEXT) | instid1(VALU_DEP_1)
	v_lshlrev_b32_e32 v25, 8, v25
	v_ldexp_f64 v[25:26], v[6:7], v25
	s_delay_alu instid0(VALU_DEP_4) | instskip(NEXT) | instid1(VALU_DEP_2)
	v_add_f64 v[10:11], v[10:11], -2.0
	v_rsq_f64_e32 v[27:28], v[25:26]
	s_delay_alu instid0(VALU_DEP_1)
	v_fma_f64 v[14:15], v[10:11], s[8:9], s[6:7]
	s_mov_b32 s9, 0xbc5871a5
	s_mov_b32 s6, 0x41a8cdf4
	;; [unrolled: 1-line block ×3, first 2 shown]
	s_waitcnt_depctr 0xfff
	v_mul_f64 v[29:30], v[25:26], v[27:28]
	v_mul_f64 v[27:28], v[27:28], 0.5
	v_fma_f64 v[17:18], v[10:11], v[14:15], s[8:9]
	s_mov_b32 s8, 0x6a5dcb37
	s_mov_b32 s9, 0x3e5ade15
	s_delay_alu instid0(VALU_DEP_2) | instskip(NEXT) | instid1(VALU_DEP_2)
	v_fma_f64 v[31:32], -v[27:28], v[29:30], 0.5
	v_add_f64 v[17:18], v[17:18], s[6:7]
	s_mov_b32 s6, 0x74d77641
	s_mov_b32 s7, 0xbca82f94
	s_delay_alu instid0(VALU_DEP_2) | instskip(SKIP_1) | instid1(VALU_DEP_3)
	v_fma_f64 v[29:30], v[29:30], v[31:32], v[29:30]
	v_fma_f64 v[27:28], v[27:28], v[31:32], v[27:28]
	v_fma_f64 v[14:15], v[10:11], v[17:18], -v[14:15]
	s_delay_alu instid0(VALU_DEP_3) | instskip(NEXT) | instid1(VALU_DEP_2)
	v_fma_f64 v[31:32], -v[29:30], v[29:30], v[25:26]
	v_add_f64 v[14:15], v[14:15], s[6:7]
	s_mov_b32 s6, 0x6b94785b
	s_mov_b32 s7, 0x3cc3dbf9
	s_delay_alu instid0(VALU_DEP_1) | instskip(NEXT) | instid1(VALU_DEP_1)
	v_fma_f64 v[17:18], v[10:11], v[14:15], -v[17:18]
	v_add_f64 v[17:18], v[17:18], s[6:7]
	s_mov_b32 s6, 0xecfadd36
	s_mov_b32 s7, 0xbce0a690
	s_delay_alu instid0(VALU_DEP_1) | instskip(NEXT) | instid1(VALU_DEP_1)
	v_fma_f64 v[14:15], v[10:11], v[17:18], -v[14:15]
	;; [unrolled: 5-line block ×14, first 2 shown]
	v_add_f64 v[14:15], v[14:15], s[6:7]
	s_mov_b32 s6, 0x652b82fe
	s_mov_b32 s7, 0xbff71547
	s_delay_alu instid0(SALU_CYCLE_1) | instskip(SKIP_2) | instid1(VALU_DEP_2)
	v_mul_f64 v[19:20], v[6:7], s[6:7]
	s_mov_b32 s6, 0x81e3e46f
	s_mov_b32 s7, 0x3e929159
	v_fma_f64 v[17:18], v[10:11], v[14:15], -v[17:18]
	s_delay_alu instid0(VALU_DEP_2) | instskip(NEXT) | instid1(VALU_DEP_2)
	v_rndne_f64_e32 v[19:20], v[19:20]
	v_add_f64 v[17:18], v[17:18], s[6:7]
	s_mov_b32 s6, 0xfefa39ef
	s_mov_b32 s7, 0xbfe62e42
	s_delay_alu instid0(VALU_DEP_2) | instid1(SALU_CYCLE_1)
	v_fma_f64 v[21:22], v[19:20], s[6:7], -v[6:7]
	s_mov_b32 s6, 0x3b39803f
	s_mov_b32 s7, 0xbc7abc9e
	s_delay_alu instid0(VALU_DEP_2) | instskip(NEXT) | instid1(VALU_DEP_2)
	v_fma_f64 v[14:15], v[10:11], v[17:18], -v[14:15]
	v_fma_f64 v[21:22], v[19:20], s[6:7], v[21:22]
	s_mov_b32 s6, 0x7f18d3a9
	s_mov_b32 s7, 0xbebebb54
	s_delay_alu instid0(VALU_DEP_2) | instid1(SALU_CYCLE_1)
	v_add_f64 v[14:15], v[14:15], s[6:7]
	s_mov_b32 s6, 0xfca7ab0c
	s_mov_b32 s7, 0x3e928af3
	s_delay_alu instid0(VALU_DEP_2) | instid1(SALU_CYCLE_1)
	v_fma_f64 v[23:24], v[21:22], s[8:9], s[6:7]
	s_mov_b32 s6, 0x623fde64
	s_mov_b32 s7, 0x3ec71dee
	s_delay_alu instid0(VALU_DEP_2) | instskip(NEXT) | instid1(VALU_DEP_2)
	v_fma_f64 v[17:18], v[10:11], v[14:15], -v[17:18]
	v_fma_f64 v[23:24], v[21:22], v[23:24], s[6:7]
	s_mov_b32 s6, 0xcc7470a9
	s_mov_b32 s7, 0x3eed413f
	s_delay_alu instid0(VALU_DEP_2) | instid1(SALU_CYCLE_1)
	v_add_f64 v[17:18], v[17:18], s[6:7]
	s_mov_b32 s6, 0x7c89e6b0
	s_mov_b32 s7, 0x3efa0199
	s_delay_alu instid0(VALU_DEP_2) | instid1(SALU_CYCLE_1)
	v_fma_f64 v[23:24], v[21:22], v[23:24], s[6:7]
	;; [unrolled: 13-line block ×5, first 2 shown]
	s_mov_b32 s6, 0x9f4e6907
	s_mov_b32 s7, 0x400385bd
	s_delay_alu instid0(VALU_DEP_2) | instskip(SKIP_2) | instid1(VALU_DEP_4)
	v_fma_f64 v[10:11], v[10:11], v[14:15], -v[17:18]
	v_fma_f64 v[14:15], v[31:32], v[27:28], v[29:30]
	v_cvt_i32_f64_e32 v29, v[19:20]
	v_fma_f64 v[23:24], v[21:22], v[23:24], 1.0
	s_delay_alu instid0(VALU_DEP_4) | instskip(NEXT) | instid1(VALU_DEP_4)
	v_add_f64 v[10:11], v[10:11], s[6:7]
	v_fma_f64 v[19:20], -v[14:15], v[14:15], v[25:26]
	s_delay_alu instid0(VALU_DEP_3) | instskip(NEXT) | instid1(VALU_DEP_3)
	v_fma_f64 v[21:22], v[21:22], v[23:24], 1.0
	v_add_f64 v[10:11], v[10:11], -v[17:18]
	s_delay_alu instid0(VALU_DEP_3) | instskip(NEXT) | instid1(VALU_DEP_3)
	v_fma_f64 v[14:15], v[19:20], v[27:28], v[14:15]
	v_ldexp_f64 v[17:18], v[21:22], v29
	s_delay_alu instid0(VALU_DEP_3) | instskip(SKIP_2) | instid1(VALU_DEP_2)
	v_mul_f64 v[6:7], v[10:11], 0.5
	v_cndmask_b32_e64 v10, 0, 0xffffff80, vcc_lo
	v_cmp_class_f64_e64 vcc_lo, v[25:26], 0x260
	v_ldexp_f64 v[10:11], v[14:15], v10
	v_cndmask_b32_e64 v15, 0, v18, s0
	v_cndmask_b32_e64 v14, 0, v17, s0
	s_delay_alu instid0(VALU_DEP_1) | instskip(NEXT) | instid1(VALU_DEP_4)
	v_mul_f64 v[6:7], v[14:15], v[6:7]
	v_dual_cndmask_b32 v11, v11, v26 :: v_dual_cndmask_b32 v10, v10, v25
	s_delay_alu instid0(VALU_DEP_1) | instskip(NEXT) | instid1(VALU_DEP_1)
	v_div_scale_f64 v[14:15], null, v[10:11], v[10:11], v[6:7]
	v_rcp_f64_e32 v[17:18], v[14:15]
	s_waitcnt_depctr 0xfff
	v_fma_f64 v[19:20], -v[14:15], v[17:18], 1.0
	s_delay_alu instid0(VALU_DEP_1) | instskip(NEXT) | instid1(VALU_DEP_1)
	v_fma_f64 v[17:18], v[17:18], v[19:20], v[17:18]
	v_fma_f64 v[19:20], -v[14:15], v[17:18], 1.0
	s_delay_alu instid0(VALU_DEP_1) | instskip(SKIP_1) | instid1(VALU_DEP_1)
	v_fma_f64 v[17:18], v[17:18], v[19:20], v[17:18]
	v_div_scale_f64 v[19:20], vcc_lo, v[6:7], v[10:11], v[6:7]
	v_mul_f64 v[21:22], v[19:20], v[17:18]
	s_delay_alu instid0(VALU_DEP_1) | instskip(NEXT) | instid1(VALU_DEP_1)
	v_fma_f64 v[14:15], -v[14:15], v[21:22], v[19:20]
	v_div_fmas_f64 v[14:15], v[14:15], v[17:18], v[21:22]
	s_delay_alu instid0(VALU_DEP_1)
	v_div_fixup_f64 v[10:11], v[14:15], v[10:11], v[6:7]
.LBB1_34:
	s_or_b32 exec_lo, exec_lo, s5
.LBB1_35:
	s_delay_alu instid0(SALU_CYCLE_1)
	s_or_b32 exec_lo, exec_lo, s4
.LBB1_36:
	s_delay_alu instid0(SALU_CYCLE_1) | instskip(NEXT) | instid1(SALU_CYCLE_1)
	s_or_b32 exec_lo, exec_lo, s1
	s_mov_b32 s1, exec_lo
	v_cmpx_neq_f64_e32 0, v[8:9]
	s_cbranch_execz .LBB1_48
; %bb.37:
	v_mov_b32_e32 v12, 0
	v_mov_b32_e32 v13, 0x7ff80000
	s_mov_b32 s4, exec_lo
	v_cmpx_ngt_f64_e32 0, v[8:9]
	s_cbranch_execz .LBB1_47
; %bb.38:
	s_mov_b32 s0, exec_lo
	v_cmpx_ge_f64_e32 2.0, v[8:9]
	s_xor_b32 s5, exec_lo, s0
	s_cbranch_execz .LBB1_44
; %bb.39:
	v_mul_f64 v[6:7], v[8:9], 0.5
	s_mov_b32 s0, exec_lo
                                        ; implicit-def: $vgpr12_vgpr13
	v_cmpx_ge_f64_e32 0x40200000, v[8:9]
	s_xor_b32 s0, exec_lo, s0
	s_cbranch_execz .LBB1_41
; %bb.40:
	s_delay_alu instid0(VALU_DEP_2)
	v_add_f64 v[12:13], v[6:7], -2.0
	s_mov_b32 s6, 0x977da589
	s_mov_b32 s7, 0x3c833362
	;; [unrolled: 1-line block ×4, first 2 shown]
	v_cmp_nlt_f64_e32 vcc_lo, 0x40900000, v[8:9]
	s_delay_alu instid0(VALU_DEP_2) | instskip(SKIP_3) | instid1(VALU_DEP_1)
	v_fma_f64 v[14:15], v[12:13], s[8:9], s[6:7]
	s_mov_b32 s9, 0x3c545cb7
	s_mov_b32 s6, 0x721ebbb4
	s_mov_b32 s7, 0xbcb184eb
	v_fma_f64 v[17:18], v[12:13], v[14:15], s[8:9]
	s_mov_b32 s8, 0x6a5dcb37
	s_mov_b32 s9, 0x3e5ade15
	s_delay_alu instid0(VALU_DEP_1) | instskip(SKIP_2) | instid1(VALU_DEP_1)
	v_add_f64 v[17:18], v[17:18], s[6:7]
	s_mov_b32 s6, 0x93f65eba
	s_mov_b32 s7, 0x3cdee6d8
	v_fma_f64 v[14:15], v[12:13], v[17:18], -v[14:15]
	s_delay_alu instid0(VALU_DEP_1) | instskip(SKIP_2) | instid1(VALU_DEP_1)
	v_add_f64 v[14:15], v[14:15], s[6:7]
	s_mov_b32 s6, 0xc297fbeb
	s_mov_b32 s7, 0xbd0a5022
	v_fma_f64 v[17:18], v[12:13], v[14:15], -v[17:18]
	;; [unrolled: 5-line block ×20, first 2 shown]
	s_delay_alu instid0(VALU_DEP_1) | instskip(SKIP_2) | instid1(SALU_CYCLE_1)
	v_add_f64 v[17:18], v[17:18], s[6:7]
	s_mov_b32 s6, 0x652b82fe
	s_mov_b32 s7, 0x3ff71547
	v_mul_f64 v[19:20], v[8:9], s[6:7]
	s_mov_b32 s6, 0xf3dde3dd
	s_mov_b32 s7, 0x3f859961
	s_delay_alu instid0(VALU_DEP_2) | instskip(NEXT) | instid1(VALU_DEP_2)
	v_fma_f64 v[14:15], v[12:13], v[17:18], -v[14:15]
	v_rndne_f64_e32 v[19:20], v[19:20]
	s_delay_alu instid0(VALU_DEP_2)
	v_add_f64 v[14:15], v[14:15], s[6:7]
	s_mov_b32 s6, 0xfefa39ef
	s_mov_b32 s7, 0xbfe62e42
	s_delay_alu instid0(VALU_DEP_2) | instid1(SALU_CYCLE_1)
	v_fma_f64 v[21:22], v[19:20], s[6:7], v[8:9]
	s_mov_b32 s6, 0x3b39803f
	s_mov_b32 s7, 0xbc7abc9e
	s_delay_alu instid0(VALU_DEP_2) | instskip(NEXT) | instid1(VALU_DEP_2)
	v_fma_f64 v[17:18], v[12:13], v[14:15], -v[17:18]
	v_fma_f64 v[21:22], v[19:20], s[6:7], v[21:22]
	s_mov_b32 s6, 0xf121b6f0
	s_mov_b32 s7, 0xbf984e9e
	v_cvt_i32_f64_e32 v19, v[19:20]
	s_delay_alu instid0(VALU_DEP_3)
	v_add_f64 v[17:18], v[17:18], s[6:7]
	s_mov_b32 s6, 0xfca7ab0c
	s_mov_b32 s7, 0x3e928af3
	s_delay_alu instid0(VALU_DEP_3) | instid1(SALU_CYCLE_1)
	v_fma_f64 v[23:24], v[21:22], s[8:9], s[6:7]
	s_mov_b32 s6, 0x623fde64
	s_mov_b32 s7, 0x3ec71dee
	s_delay_alu instid0(VALU_DEP_2) | instskip(NEXT) | instid1(VALU_DEP_2)
	v_fma_f64 v[14:15], v[12:13], v[17:18], -v[14:15]
	v_fma_f64 v[23:24], v[21:22], v[23:24], s[6:7]
	s_mov_b32 s6, 0xcea8a32d
	s_mov_b32 s7, 0x3fa93e8a
	s_delay_alu instid0(VALU_DEP_2) | instid1(SALU_CYCLE_1)
	v_add_f64 v[14:15], v[14:15], s[6:7]
	s_mov_b32 s6, 0x7c89e6b0
	s_mov_b32 s7, 0x3efa0199
	s_delay_alu instid0(VALU_DEP_2) | instid1(SALU_CYCLE_1)
	v_fma_f64 v[23:24], v[21:22], v[23:24], s[6:7]
	s_mov_b32 s6, 0x14761f6e
	s_mov_b32 s7, 0x3f2a01a0
	s_delay_alu instid0(VALU_DEP_2) | instskip(NEXT) | instid1(VALU_DEP_2)
	v_fma_f64 v[17:18], v[12:13], v[14:15], -v[17:18]
	v_fma_f64 v[23:24], v[21:22], v[23:24], s[6:7]
	s_mov_b32 s6, 0x342d06ea
	s_mov_b32 s7, 0xbfb84b70
	s_delay_alu instid0(VALU_DEP_2) | instid1(SALU_CYCLE_1)
	v_add_f64 v[17:18], v[17:18], s[6:7]
	s_mov_b32 s6, 0x1852b7b0
	s_mov_b32 s7, 0x3f56c16c
	s_delay_alu instid0(VALU_DEP_2) | instid1(SALU_CYCLE_1)
	;; [unrolled: 13-line block ×4, first 2 shown]
	v_fma_f64 v[23:24], v[21:22], v[23:24], s[6:7]
	s_mov_b32 s6, 0x9035a22a
	s_mov_b32 s7, 0x3fe5a84e
	s_delay_alu instid0(VALU_DEP_2) | instskip(NEXT) | instid1(VALU_DEP_2)
	v_fma_f64 v[12:13], v[12:13], v[17:18], -v[14:15]
	v_fma_f64 v[17:18], v[21:22], v[23:24], 1.0
	s_delay_alu instid0(VALU_DEP_2) | instskip(NEXT) | instid1(VALU_DEP_2)
	v_add_f64 v[12:13], v[12:13], s[6:7]
	v_fma_f64 v[17:18], v[21:22], v[17:18], 1.0
	s_delay_alu instid0(VALU_DEP_2) | instskip(NEXT) | instid1(VALU_DEP_2)
	v_add_f64 v[12:13], v[12:13], -v[14:15]
	v_ldexp_f64 v[14:15], v[17:18], v19
	s_delay_alu instid0(VALU_DEP_2) | instskip(NEXT) | instid1(VALU_DEP_2)
	v_mul_f64 v[12:13], v[12:13], 0.5
	v_cndmask_b32_e32 v15, 0x7ff00000, v15, vcc_lo
	s_delay_alu instid0(VALU_DEP_3) | instskip(NEXT) | instid1(VALU_DEP_1)
	v_cndmask_b32_e32 v14, 0, v14, vcc_lo
	v_mul_f64 v[12:13], v[14:15], v[12:13]
.LBB1_41:
	s_and_not1_saveexec_b32 s6, s0
	s_cbranch_execz .LBB1_43
; %bb.42:
	v_div_scale_f64 v[12:13], null, v[8:9], v[8:9], 0x40400000
	v_div_scale_f64 v[19:20], vcc_lo, 0x40400000, v[8:9], 0x40400000
	s_mov_b32 s8, 0x66119130
	s_mov_b32 s9, 0xbc5646da
	;; [unrolled: 1-line block ×4, first 2 shown]
	v_cmp_nlt_f64_e64 s0, 0x40900000, v[8:9]
	s_delay_alu instid0(VALU_DEP_3) | instskip(SKIP_2) | instid1(VALU_DEP_1)
	v_rcp_f64_e32 v[14:15], v[12:13]
	s_waitcnt_depctr 0xfff
	v_fma_f64 v[17:18], -v[12:13], v[14:15], 1.0
	v_fma_f64 v[14:15], v[14:15], v[17:18], v[14:15]
	s_delay_alu instid0(VALU_DEP_1) | instskip(NEXT) | instid1(VALU_DEP_1)
	v_fma_f64 v[17:18], -v[12:13], v[14:15], 1.0
	v_fma_f64 v[14:15], v[14:15], v[17:18], v[14:15]
	s_delay_alu instid0(VALU_DEP_1) | instskip(NEXT) | instid1(VALU_DEP_1)
	v_mul_f64 v[17:18], v[19:20], v[14:15]
	v_fma_f64 v[12:13], -v[12:13], v[17:18], v[19:20]
	s_delay_alu instid0(VALU_DEP_1) | instskip(SKIP_1) | instid1(VALU_DEP_2)
	v_div_fmas_f64 v[12:13], v[12:13], v[14:15], v[17:18]
	v_cmp_gt_f64_e32 vcc_lo, 0x10000000, v[8:9]
	v_div_fixup_f64 v[12:13], v[12:13], v[8:9], 0x40400000
	v_cndmask_b32_e64 v25, 0, 1, vcc_lo
	s_delay_alu instid0(VALU_DEP_1) | instskip(NEXT) | instid1(VALU_DEP_1)
	v_lshlrev_b32_e32 v25, 8, v25
	v_ldexp_f64 v[25:26], v[8:9], v25
	s_delay_alu instid0(VALU_DEP_4) | instskip(NEXT) | instid1(VALU_DEP_2)
	v_add_f64 v[12:13], v[12:13], -2.0
	v_rsq_f64_e32 v[27:28], v[25:26]
	s_delay_alu instid0(VALU_DEP_1)
	v_fma_f64 v[14:15], v[12:13], s[10:11], s[8:9]
	s_mov_b32 s11, 0x3c60adb7
	s_mov_b32 s8, 0x12d98421
	;; [unrolled: 1-line block ×3, first 2 shown]
	s_waitcnt_depctr 0xfff
	v_mul_f64 v[29:30], v[25:26], v[27:28]
	v_mul_f64 v[27:28], v[27:28], 0.5
	v_fma_f64 v[17:18], v[12:13], v[14:15], s[10:11]
	s_mov_b32 s10, 0x6a5dcb37
	s_mov_b32 s11, 0x3e5ade15
	s_delay_alu instid0(VALU_DEP_2) | instskip(NEXT) | instid1(VALU_DEP_2)
	v_fma_f64 v[31:32], -v[27:28], v[29:30], 0.5
	v_add_f64 v[17:18], v[17:18], s[8:9]
	s_mov_b32 s8, 0x76041cd
	s_mov_b32 s9, 0x3c83f3dd
	s_delay_alu instid0(VALU_DEP_2) | instskip(SKIP_1) | instid1(VALU_DEP_3)
	v_fma_f64 v[29:30], v[29:30], v[31:32], v[29:30]
	v_fma_f64 v[27:28], v[27:28], v[31:32], v[27:28]
	v_fma_f64 v[14:15], v[12:13], v[17:18], -v[14:15]
	s_delay_alu instid0(VALU_DEP_3) | instskip(NEXT) | instid1(VALU_DEP_2)
	v_fma_f64 v[31:32], -v[29:30], v[29:30], v[25:26]
	v_add_f64 v[14:15], v[14:15], s[8:9]
	s_mov_b32 s8, 0xabd21fe4
	s_mov_b32 s9, 0xbcb4600b
	s_delay_alu instid0(VALU_DEP_1) | instskip(NEXT) | instid1(VALU_DEP_1)
	v_fma_f64 v[17:18], v[12:13], v[14:15], -v[17:18]
	v_add_f64 v[17:18], v[17:18], s[8:9]
	s_mov_b32 s8, 0xd908de38
	s_mov_b32 s9, 0xbcb8aee7
	s_delay_alu instid0(VALU_DEP_1) | instskip(NEXT) | instid1(VALU_DEP_1)
	v_fma_f64 v[14:15], v[12:13], v[17:18], -v[14:15]
	;; [unrolled: 5-line block ×14, first 2 shown]
	v_add_f64 v[14:15], v[14:15], s[8:9]
	s_mov_b32 s8, 0x652b82fe
	s_mov_b32 s9, 0x3ff71547
	s_delay_alu instid0(SALU_CYCLE_1) | instskip(SKIP_2) | instid1(VALU_DEP_2)
	v_mul_f64 v[19:20], v[8:9], s[8:9]
	s_mov_b32 s8, 0xa9225b87
	s_mov_b32 s9, 0x3e2d2c64
	v_fma_f64 v[17:18], v[12:13], v[14:15], -v[17:18]
	s_delay_alu instid0(VALU_DEP_2) | instskip(NEXT) | instid1(VALU_DEP_2)
	v_rndne_f64_e32 v[19:20], v[19:20]
	v_add_f64 v[17:18], v[17:18], s[8:9]
	s_mov_b32 s8, 0xfefa39ef
	s_mov_b32 s9, 0xbfe62e42
	s_delay_alu instid0(VALU_DEP_2) | instid1(SALU_CYCLE_1)
	v_fma_f64 v[21:22], v[19:20], s[8:9], v[8:9]
	s_mov_b32 s8, 0x3b39803f
	s_mov_b32 s9, 0xbc7abc9e
	s_delay_alu instid0(VALU_DEP_2) | instskip(NEXT) | instid1(VALU_DEP_2)
	v_fma_f64 v[14:15], v[12:13], v[17:18], -v[14:15]
	v_fma_f64 v[21:22], v[19:20], s[8:9], v[21:22]
	s_mov_b32 s8, 0x80d6d56d
	s_mov_b32 s9, 0x3e585692
	s_delay_alu instid0(VALU_DEP_2) | instid1(SALU_CYCLE_1)
	v_add_f64 v[14:15], v[14:15], s[8:9]
	s_mov_b32 s8, 0xfca7ab0c
	s_mov_b32 s9, 0x3e928af3
	s_delay_alu instid0(VALU_DEP_2) | instid1(SALU_CYCLE_1)
	v_fma_f64 v[23:24], v[21:22], s[10:11], s[8:9]
	s_mov_b32 s8, 0x623fde64
	s_mov_b32 s9, 0x3ec71dee
	s_delay_alu instid0(VALU_DEP_2) | instskip(NEXT) | instid1(VALU_DEP_2)
	v_fma_f64 v[17:18], v[12:13], v[14:15], -v[17:18]
	v_fma_f64 v[23:24], v[21:22], v[23:24], s[8:9]
	s_mov_b32 s8, 0xd9cd616e
	s_mov_b32 s9, 0x3e8b8007
	s_delay_alu instid0(VALU_DEP_2) | instid1(SALU_CYCLE_1)
	;; [unrolled: 13-line block ×5, first 2 shown]
	v_add_f64 v[14:15], v[14:15], s[8:9]
	s_mov_b32 s8, 11
	s_mov_b32 s9, 0x3fe00000
	s_delay_alu instid0(VALU_DEP_2) | instid1(SALU_CYCLE_1)
	v_fma_f64 v[23:24], v[21:22], v[23:24], s[8:9]
	s_mov_b32 s8, 0xaca809cb
	s_mov_b32 s9, 0x3fe9be62
	s_delay_alu instid0(VALU_DEP_2) | instskip(SKIP_2) | instid1(VALU_DEP_4)
	v_fma_f64 v[12:13], v[12:13], v[14:15], -v[17:18]
	v_fma_f64 v[14:15], v[31:32], v[27:28], v[29:30]
	v_cvt_i32_f64_e32 v29, v[19:20]
	v_fma_f64 v[23:24], v[21:22], v[23:24], 1.0
	s_delay_alu instid0(VALU_DEP_4) | instskip(NEXT) | instid1(VALU_DEP_4)
	v_add_f64 v[12:13], v[12:13], s[8:9]
	v_fma_f64 v[19:20], -v[14:15], v[14:15], v[25:26]
	s_delay_alu instid0(VALU_DEP_3) | instskip(NEXT) | instid1(VALU_DEP_3)
	v_fma_f64 v[21:22], v[21:22], v[23:24], 1.0
	v_add_f64 v[12:13], v[12:13], -v[17:18]
	s_delay_alu instid0(VALU_DEP_3) | instskip(SKIP_4) | instid1(VALU_DEP_4)
	v_fma_f64 v[14:15], v[19:20], v[27:28], v[14:15]
	v_cndmask_b32_e64 v19, 0, 0xffffff80, vcc_lo
	v_cmp_class_f64_e64 vcc_lo, v[25:26], 0x260
	v_ldexp_f64 v[17:18], v[21:22], v29
	v_mul_f64 v[12:13], v[12:13], 0.5
	v_ldexp_f64 v[14:15], v[14:15], v19
	s_delay_alu instid0(VALU_DEP_3) | instskip(NEXT) | instid1(VALU_DEP_4)
	v_cndmask_b32_e64 v18, 0x7ff00000, v18, s0
	v_cndmask_b32_e64 v17, 0, v17, s0
	s_delay_alu instid0(VALU_DEP_1) | instskip(NEXT) | instid1(VALU_DEP_4)
	v_mul_f64 v[12:13], v[17:18], v[12:13]
	v_dual_cndmask_b32 v15, v15, v26 :: v_dual_cndmask_b32 v14, v14, v25
	s_delay_alu instid0(VALU_DEP_1) | instskip(NEXT) | instid1(VALU_DEP_1)
	v_div_scale_f64 v[17:18], null, v[14:15], v[14:15], v[12:13]
	v_rcp_f64_e32 v[19:20], v[17:18]
	s_waitcnt_depctr 0xfff
	v_fma_f64 v[21:22], -v[17:18], v[19:20], 1.0
	s_delay_alu instid0(VALU_DEP_1) | instskip(NEXT) | instid1(VALU_DEP_1)
	v_fma_f64 v[19:20], v[19:20], v[21:22], v[19:20]
	v_fma_f64 v[21:22], -v[17:18], v[19:20], 1.0
	s_delay_alu instid0(VALU_DEP_1) | instskip(SKIP_1) | instid1(VALU_DEP_1)
	v_fma_f64 v[19:20], v[19:20], v[21:22], v[19:20]
	v_div_scale_f64 v[21:22], vcc_lo, v[12:13], v[14:15], v[12:13]
	v_mul_f64 v[23:24], v[21:22], v[19:20]
	s_delay_alu instid0(VALU_DEP_1) | instskip(NEXT) | instid1(VALU_DEP_1)
	v_fma_f64 v[17:18], -v[17:18], v[23:24], v[21:22]
	v_div_fmas_f64 v[17:18], v[17:18], v[19:20], v[23:24]
	s_delay_alu instid0(VALU_DEP_1)
	v_div_fixup_f64 v[12:13], v[17:18], v[14:15], v[12:13]
.LBB1_43:
	s_or_b32 exec_lo, exec_lo, s6
	s_delay_alu instid0(VALU_DEP_2)
	v_frexp_mant_f64_e32 v[14:15], v[6:7]
	s_mov_b32 s7, 0x3fe55555
	s_mov_b32 s6, 0x55555555
	v_mov_b32_e32 v17, 0
	s_mov_b32 s8, 0x6b47b09a
	s_mov_b32 s10, 0xbf559e2b
	;; [unrolled: 1-line block ×4, first 2 shown]
	v_fma_f64 v[8:9], v[8:9], v[8:9], -2.0
	s_delay_alu instid0(VALU_DEP_3) | instskip(SKIP_2) | instid1(VALU_DEP_1)
	v_cmp_gt_f64_e32 vcc_lo, s[6:7], v[14:15]
	s_mov_b32 s6, 0x55555780
	v_cndmask_b32_e64 v18, 0x3ff00000, 2.0, vcc_lo
	v_mul_f64 v[14:15], v[14:15], v[17:18]
	s_delay_alu instid0(VALU_DEP_1) | instskip(SKIP_1) | instid1(VALU_DEP_2)
	v_add_f64 v[17:18], v[14:15], 1.0
	v_add_f64 v[23:24], v[14:15], -1.0
	v_rcp_f64_e32 v[19:20], v[17:18]
	v_add_f64 v[25:26], v[17:18], -1.0
	s_delay_alu instid0(VALU_DEP_1) | instskip(SKIP_2) | instid1(VALU_DEP_1)
	v_add_f64 v[14:15], v[14:15], -v[25:26]
	s_waitcnt_depctr 0xfff
	v_fma_f64 v[21:22], -v[17:18], v[19:20], 1.0
	v_fma_f64 v[19:20], v[21:22], v[19:20], v[19:20]
	s_delay_alu instid0(VALU_DEP_1) | instskip(NEXT) | instid1(VALU_DEP_1)
	v_fma_f64 v[21:22], -v[17:18], v[19:20], 1.0
	v_fma_f64 v[19:20], v[21:22], v[19:20], v[19:20]
	s_delay_alu instid0(VALU_DEP_1) | instskip(NEXT) | instid1(VALU_DEP_1)
	v_mul_f64 v[21:22], v[23:24], v[19:20]
	v_mul_f64 v[27:28], v[17:18], v[21:22]
	s_delay_alu instid0(VALU_DEP_1) | instskip(NEXT) | instid1(VALU_DEP_1)
	v_fma_f64 v[17:18], v[21:22], v[17:18], -v[27:28]
	v_fma_f64 v[14:15], v[21:22], v[14:15], v[17:18]
	s_delay_alu instid0(VALU_DEP_1) | instskip(NEXT) | instid1(VALU_DEP_1)
	v_add_f64 v[17:18], v[27:28], v[14:15]
	v_add_f64 v[25:26], v[23:24], -v[17:18]
	v_add_f64 v[27:28], v[17:18], -v[27:28]
	s_delay_alu instid0(VALU_DEP_2) | instskip(NEXT) | instid1(VALU_DEP_2)
	v_add_f64 v[23:24], v[23:24], -v[25:26]
	v_add_f64 v[14:15], v[27:28], -v[14:15]
	v_frexp_exp_i32_f64_e32 v27, v[6:7]
	s_delay_alu instid0(VALU_DEP_3) | instskip(NEXT) | instid1(VALU_DEP_1)
	v_add_f64 v[17:18], v[23:24], -v[17:18]
	v_add_f64 v[14:15], v[14:15], v[17:18]
	s_delay_alu instid0(VALU_DEP_1) | instskip(NEXT) | instid1(VALU_DEP_1)
	v_add_f64 v[14:15], v[25:26], v[14:15]
	v_mul_f64 v[14:15], v[19:20], v[14:15]
	s_delay_alu instid0(VALU_DEP_1) | instskip(NEXT) | instid1(VALU_DEP_1)
	v_add_f64 v[17:18], v[21:22], v[14:15]
	v_mul_f64 v[19:20], v[17:18], v[17:18]
	s_delay_alu instid0(VALU_DEP_1) | instskip(SKIP_3) | instid1(VALU_DEP_2)
	v_fma_f64 v[23:24], v[19:20], s[10:11], s[8:9]
	s_mov_b32 s8, 0xd7f4df2e
	s_mov_b32 s9, 0x3fc7474d
	v_mul_f64 v[25:26], v[17:18], v[19:20]
	v_fma_f64 v[23:24], v[19:20], v[23:24], s[8:9]
	s_mov_b32 s8, 0x16291751
	s_mov_b32 s9, 0x3fcc71c0
	s_delay_alu instid0(VALU_DEP_1) | instid1(SALU_CYCLE_1)
	v_fma_f64 v[23:24], v[19:20], v[23:24], s[8:9]
	s_mov_b32 s8, 0x9b27acf1
	s_mov_b32 s9, 0x3fd24924
	s_delay_alu instid0(VALU_DEP_1) | instid1(SALU_CYCLE_1)
	;; [unrolled: 4-line block ×3, first 2 shown]
	v_fma_f64 v[23:24], v[19:20], v[23:24], s[8:9]
	s_mov_b32 s9, 0x3ca3cee1
	s_mov_b32 s8, 0xe6a7fd77
	s_delay_alu instid0(VALU_DEP_1) | instskip(SKIP_4) | instid1(VALU_DEP_3)
	v_fma_f64 v[19:20], v[19:20], v[23:24], s[6:7]
	v_ldexp_f64 v[23:24], v[17:18], 1
	v_add_f64 v[17:18], v[17:18], -v[21:22]
	s_mov_b32 s6, 0xc384c2aa
	s_mov_b32 s7, 0x3d27fb0a
	v_mul_f64 v[19:20], v[25:26], v[19:20]
	v_subrev_co_ci_u32_e32 v25, vcc_lo, 0, v27, vcc_lo
	v_fma_f64 v[27:28], v[8:9], s[8:9], s[6:7]
	s_mov_b32 s6, 0xfefa39ef
	s_mov_b32 s7, 0x3fe62e42
	s_delay_alu instid0(VALU_DEP_2) | instskip(SKIP_4) | instid1(VALU_DEP_4)
	v_cvt_f64_i32_e32 v[25:26], v25
	v_add_f64 v[14:15], v[14:15], -v[17:18]
	s_mov_b32 s9, 0xbca3cee1
	v_cmp_eq_f64_e32 vcc_lo, 0x7ff00000, v[6:7]
	v_add_f64 v[21:22], v[23:24], v[19:20]
	v_mul_f64 v[29:30], v[25:26], s[6:7]
	s_delay_alu instid0(VALU_DEP_4) | instskip(NEXT) | instid1(VALU_DEP_3)
	v_ldexp_f64 v[14:15], v[14:15], 1
	v_add_f64 v[17:18], v[21:22], -v[23:24]
	v_fma_f64 v[23:24], v[8:9], v[27:28], s[8:9]
	s_delay_alu instid0(VALU_DEP_4) | instskip(SKIP_2) | instid1(VALU_DEP_3)
	v_fma_f64 v[31:32], v[25:26], s[6:7], -v[29:30]
	s_mov_b32 s6, 0x47512144
	s_mov_b32 s7, 0x3da6c25c
	v_add_f64 v[17:18], v[19:20], -v[17:18]
	s_delay_alu instid0(VALU_DEP_3)
	v_add_f64 v[19:20], v[23:24], s[6:7]
	s_mov_b32 s6, 0x3b39803f
	s_mov_b32 s7, 0x3c7abc9e
	s_delay_alu instid0(VALU_DEP_3) | instid1(SALU_CYCLE_1)
	v_fma_f64 v[23:24], v[25:26], s[6:7], v[31:32]
	s_mov_b32 s6, 0x67e58a13
	s_mov_b32 s7, 0x3e205c13
	s_delay_alu instid0(VALU_DEP_3) | instskip(NEXT) | instid1(VALU_DEP_3)
	v_add_f64 v[14:15], v[14:15], v[17:18]
	v_fma_f64 v[17:18], v[8:9], v[19:20], -v[27:28]
	s_delay_alu instid0(VALU_DEP_3) | instskip(NEXT) | instid1(VALU_DEP_3)
	v_add_f64 v[25:26], v[29:30], v[23:24]
	v_add_f64 v[27:28], v[21:22], v[14:15]
	s_delay_alu instid0(VALU_DEP_3) | instskip(SKIP_2) | instid1(VALU_DEP_3)
	v_add_f64 v[17:18], v[17:18], s[6:7]
	s_mov_b32 s6, 0xe7f95efc
	s_mov_b32 s7, 0x3e9102bc
	v_add_f64 v[29:30], v[25:26], -v[29:30]
	s_delay_alu instid0(VALU_DEP_3) | instskip(NEXT) | instid1(VALU_DEP_3)
	v_add_f64 v[31:32], v[25:26], v[27:28]
	v_fma_f64 v[19:20], v[8:9], v[17:18], -v[19:20]
	v_add_f64 v[21:22], v[27:28], -v[21:22]
	s_delay_alu instid0(VALU_DEP_4) | instskip(NEXT) | instid1(VALU_DEP_4)
	v_add_f64 v[23:24], v[23:24], -v[29:30]
	v_add_f64 v[33:34], v[31:32], -v[25:26]
	s_delay_alu instid0(VALU_DEP_4) | instskip(NEXT) | instid1(VALU_DEP_4)
	v_add_f64 v[19:20], v[19:20], s[6:7]
	v_add_f64 v[14:15], v[14:15], -v[21:22]
	s_mov_b32 s6, 0xfe8cfca0
	s_mov_b32 s7, 0x3ef7f900
	s_delay_alu instid0(VALU_DEP_3) | instskip(NEXT) | instid1(VALU_DEP_3)
	v_add_f64 v[35:36], v[31:32], -v[33:34]
	v_fma_f64 v[17:18], v[8:9], v[19:20], -v[17:18]
	v_add_f64 v[21:22], v[27:28], -v[33:34]
	s_delay_alu instid0(VALU_DEP_4) | instskip(NEXT) | instid1(VALU_DEP_4)
	v_add_f64 v[27:28], v[23:24], v[14:15]
	v_add_f64 v[25:26], v[25:26], -v[35:36]
	s_delay_alu instid0(VALU_DEP_4) | instskip(SKIP_2) | instid1(VALU_DEP_2)
	v_add_f64 v[17:18], v[17:18], s[6:7]
	s_mov_b32 s6, 0x75633d73
	s_mov_b32 s7, 0x3f54b82e
	v_add_f64 v[21:22], v[21:22], v[25:26]
	s_delay_alu instid0(VALU_DEP_2) | instskip(SKIP_1) | instid1(VALU_DEP_3)
	v_fma_f64 v[19:20], v[8:9], v[17:18], -v[19:20]
	v_add_f64 v[25:26], v[27:28], -v[23:24]
	v_add_f64 v[21:22], v[27:28], v[21:22]
	s_delay_alu instid0(VALU_DEP_3) | instskip(NEXT) | instid1(VALU_DEP_3)
	v_add_f64 v[19:20], v[19:20], s[6:7]
	v_add_f64 v[27:28], v[27:28], -v[25:26]
	v_add_f64 v[14:15], v[14:15], -v[25:26]
	s_mov_b32 s6, 0x554a9085
	s_mov_b32 s7, 0x3fa26bf6
	s_delay_alu instid0(VALU_DEP_4) | instskip(NEXT) | instid1(VALU_DEP_4)
	v_add_f64 v[29:30], v[31:32], v[21:22]
	v_fma_f64 v[17:18], v[8:9], v[19:20], -v[17:18]
	s_delay_alu instid0(VALU_DEP_4) | instskip(NEXT) | instid1(VALU_DEP_3)
	v_add_f64 v[23:24], v[23:24], -v[27:28]
	v_add_f64 v[25:26], v[29:30], -v[31:32]
	s_delay_alu instid0(VALU_DEP_3) | instskip(NEXT) | instid1(VALU_DEP_3)
	v_add_f64 v[17:18], v[17:18], s[6:7]
	v_add_f64 v[14:15], v[14:15], v[23:24]
	s_mov_b32 s6, 0x81213db9
	s_mov_b32 s7, 0x3fd608d8
	s_delay_alu instid0(VALU_DEP_3) | instskip(NEXT) | instid1(VALU_DEP_3)
	v_add_f64 v[21:22], v[21:22], -v[25:26]
	v_fma_f64 v[19:20], v[8:9], v[17:18], -v[19:20]
	s_delay_alu instid0(VALU_DEP_2) | instskip(NEXT) | instid1(VALU_DEP_2)
	v_add_f64 v[14:15], v[14:15], v[21:22]
	v_add_f64 v[19:20], v[19:20], s[6:7]
	s_mov_b32 s6, 0xe9d2f61f
	s_mov_b32 s7, 0xbfe12166
	s_delay_alu instid0(VALU_DEP_2) | instskip(NEXT) | instid1(VALU_DEP_2)
	v_add_f64 v[14:15], v[29:30], v[14:15]
	v_fma_f64 v[8:9], v[8:9], v[19:20], -v[17:18]
	s_delay_alu instid0(VALU_DEP_2) | instskip(SKIP_1) | instid1(VALU_DEP_3)
	v_dual_cndmask_b32 v14, v14, v6 :: v_dual_cndmask_b32 v15, v15, v7
	v_cmp_neq_f64_e32 vcc_lo, 0, v[6:7]
	v_add_f64 v[6:7], v[8:9], s[6:7]
	s_delay_alu instid0(VALU_DEP_3) | instskip(NEXT) | instid1(VALU_DEP_4)
	v_cndmask_b32_e32 v8, 0, v14, vcc_lo
	v_cndmask_b32_e32 v9, 0xfff00000, v15, vcc_lo
	s_delay_alu instid0(VALU_DEP_3) | instskip(NEXT) | instid1(VALU_DEP_2)
	v_add_f64 v[6:7], v[6:7], -v[17:18]
	v_mul_f64 v[8:9], v[8:9], v[12:13]
	s_delay_alu instid0(VALU_DEP_1)
	v_fma_f64 v[12:13], v[6:7], 0.5, -v[8:9]
                                        ; implicit-def: $vgpr8_vgpr9
.LBB1_44:
	s_and_not1_saveexec_b32 s5, s5
	s_cbranch_execz .LBB1_46
; %bb.45:
	v_div_scale_f64 v[6:7], null, v[8:9], v[8:9], 0x40200000
	v_div_scale_f64 v[17:18], vcc_lo, 0x40200000, v[8:9], 0x40200000
	s_mov_b32 s6, 0x93812603
	s_mov_b32 s7, 0xbc72fecc
	;; [unrolled: 1-line block ×4, first 2 shown]
	v_cmp_nlt_f64_e64 s0, 0x4090cc00, v[8:9]
	s_delay_alu instid0(VALU_DEP_3) | instskip(SKIP_2) | instid1(VALU_DEP_1)
	v_rcp_f64_e32 v[12:13], v[6:7]
	s_waitcnt_depctr 0xfff
	v_fma_f64 v[14:15], -v[6:7], v[12:13], 1.0
	v_fma_f64 v[12:13], v[12:13], v[14:15], v[12:13]
	s_delay_alu instid0(VALU_DEP_1) | instskip(NEXT) | instid1(VALU_DEP_1)
	v_fma_f64 v[14:15], -v[6:7], v[12:13], 1.0
	v_fma_f64 v[12:13], v[12:13], v[14:15], v[12:13]
	s_delay_alu instid0(VALU_DEP_1) | instskip(NEXT) | instid1(VALU_DEP_1)
	v_mul_f64 v[14:15], v[17:18], v[12:13]
	v_fma_f64 v[6:7], -v[6:7], v[14:15], v[17:18]
	s_delay_alu instid0(VALU_DEP_1) | instskip(SKIP_1) | instid1(VALU_DEP_2)
	v_div_fmas_f64 v[6:7], v[6:7], v[12:13], v[14:15]
	v_cmp_gt_f64_e32 vcc_lo, 0x10000000, v[8:9]
	v_div_fixup_f64 v[6:7], v[6:7], v[8:9], 0x40200000
	v_cndmask_b32_e64 v23, 0, 1, vcc_lo
	s_delay_alu instid0(VALU_DEP_1) | instskip(NEXT) | instid1(VALU_DEP_1)
	v_lshlrev_b32_e32 v23, 8, v23
	v_ldexp_f64 v[23:24], v[8:9], v23
	s_delay_alu instid0(VALU_DEP_4) | instskip(NEXT) | instid1(VALU_DEP_2)
	v_add_f64 v[6:7], v[6:7], -2.0
	v_rsq_f64_e32 v[25:26], v[23:24]
	s_delay_alu instid0(VALU_DEP_1)
	v_fma_f64 v[12:13], v[6:7], s[8:9], s[6:7]
	s_mov_b32 s9, 0xbc5871a5
	s_mov_b32 s6, 0x41a8cdf4
	;; [unrolled: 1-line block ×3, first 2 shown]
	s_waitcnt_depctr 0xfff
	v_mul_f64 v[27:28], v[23:24], v[25:26]
	v_mul_f64 v[25:26], v[25:26], 0.5
	v_fma_f64 v[14:15], v[6:7], v[12:13], s[8:9]
	s_mov_b32 s8, 0x6a5dcb37
	s_mov_b32 s9, 0x3e5ade15
	s_delay_alu instid0(VALU_DEP_2) | instskip(NEXT) | instid1(VALU_DEP_2)
	v_fma_f64 v[29:30], -v[25:26], v[27:28], 0.5
	v_add_f64 v[14:15], v[14:15], s[6:7]
	s_mov_b32 s6, 0x74d77641
	s_mov_b32 s7, 0xbca82f94
	s_delay_alu instid0(VALU_DEP_2) | instskip(SKIP_1) | instid1(VALU_DEP_3)
	v_fma_f64 v[27:28], v[27:28], v[29:30], v[27:28]
	v_fma_f64 v[25:26], v[25:26], v[29:30], v[25:26]
	v_fma_f64 v[12:13], v[6:7], v[14:15], -v[12:13]
	s_delay_alu instid0(VALU_DEP_3) | instskip(NEXT) | instid1(VALU_DEP_2)
	v_fma_f64 v[29:30], -v[27:28], v[27:28], v[23:24]
	v_add_f64 v[12:13], v[12:13], s[6:7]
	s_mov_b32 s6, 0x6b94785b
	s_mov_b32 s7, 0x3cc3dbf9
	s_delay_alu instid0(VALU_DEP_1) | instskip(NEXT) | instid1(VALU_DEP_1)
	v_fma_f64 v[14:15], v[6:7], v[12:13], -v[14:15]
	v_add_f64 v[14:15], v[14:15], s[6:7]
	s_mov_b32 s6, 0xecfadd36
	s_mov_b32 s7, 0xbce0a690
	s_delay_alu instid0(VALU_DEP_1) | instskip(NEXT) | instid1(VALU_DEP_1)
	v_fma_f64 v[12:13], v[6:7], v[14:15], -v[12:13]
	v_add_f64 v[12:13], v[12:13], s[6:7]
	s_mov_b32 s6, 0x4a7ddc98
	s_mov_b32 s7, 0x3cfc8d9c
	s_delay_alu instid0(VALU_DEP_1) | instskip(NEXT) | instid1(VALU_DEP_1)
	v_fma_f64 v[14:15], v[6:7], v[12:13], -v[14:15]
	v_add_f64 v[14:15], v[14:15], s[6:7]
	s_mov_b32 s6, 0xbb056fc2
	s_mov_b32 s7, 0xbd19145e
	s_delay_alu instid0(VALU_DEP_1) | instskip(NEXT) | instid1(VALU_DEP_1)
	v_fma_f64 v[12:13], v[6:7], v[14:15], -v[12:13]
	v_add_f64 v[12:13], v[12:13], s[6:7]
	s_mov_b32 s6, 0xcd94cfe2
	s_mov_b32 s7, 0x3d369c4e
	s_delay_alu instid0(VALU_DEP_1) | instskip(NEXT) | instid1(VALU_DEP_1)
	v_fma_f64 v[14:15], v[6:7], v[12:13], -v[14:15]
	v_add_f64 v[14:15], v[14:15], s[6:7]
	s_mov_b32 s6, 0x21a470d1
	s_mov_b32 s7, 0xbd54f877
	s_delay_alu instid0(VALU_DEP_1) | instskip(NEXT) | instid1(VALU_DEP_1)
	v_fma_f64 v[12:13], v[6:7], v[14:15], -v[12:13]
	v_add_f64 v[12:13], v[12:13], s[6:7]
	s_mov_b32 s6, 0x2fccfc25
	s_mov_b32 s7, 0x3d740fa3
	s_delay_alu instid0(VALU_DEP_1) | instskip(NEXT) | instid1(VALU_DEP_1)
	v_fma_f64 v[14:15], v[6:7], v[12:13], -v[14:15]
	v_add_f64 v[14:15], v[14:15], s[6:7]
	s_mov_b32 s6, 0x3f005143
	s_mov_b32 s7, 0xbd93dafc
	s_delay_alu instid0(VALU_DEP_1) | instskip(NEXT) | instid1(VALU_DEP_1)
	v_fma_f64 v[12:13], v[6:7], v[14:15], -v[12:13]
	v_add_f64 v[12:13], v[12:13], s[6:7]
	s_mov_b32 s6, 0x475fbcc7
	s_mov_b32 s7, 0x3db46808
	s_delay_alu instid0(VALU_DEP_1) | instskip(NEXT) | instid1(VALU_DEP_1)
	v_fma_f64 v[14:15], v[6:7], v[12:13], -v[14:15]
	v_add_f64 v[14:15], v[14:15], s[6:7]
	s_mov_b32 s6, 0xd2e7c935
	s_mov_b32 s7, 0xbdd5df95
	s_delay_alu instid0(VALU_DEP_1) | instskip(NEXT) | instid1(VALU_DEP_1)
	v_fma_f64 v[12:13], v[6:7], v[14:15], -v[12:13]
	v_add_f64 v[12:13], v[12:13], s[6:7]
	s_mov_b32 s6, 0x819ff608
	s_mov_b32 s7, 0x3df8956c
	s_delay_alu instid0(VALU_DEP_1) | instskip(NEXT) | instid1(VALU_DEP_1)
	v_fma_f64 v[14:15], v[6:7], v[12:13], -v[14:15]
	v_add_f64 v[14:15], v[14:15], s[6:7]
	s_mov_b32 s6, 0xf22bf5db
	s_mov_b32 s7, 0xbe1d29d5
	s_delay_alu instid0(VALU_DEP_1) | instskip(NEXT) | instid1(VALU_DEP_1)
	v_fma_f64 v[12:13], v[6:7], v[14:15], -v[12:13]
	v_add_f64 v[12:13], v[12:13], s[6:7]
	s_mov_b32 s6, 0x33f428e
	s_mov_b32 s7, 0x3e4269a0
	s_delay_alu instid0(VALU_DEP_1) | instskip(NEXT) | instid1(VALU_DEP_1)
	v_fma_f64 v[14:15], v[6:7], v[12:13], -v[14:15]
	v_add_f64 v[14:15], v[14:15], s[6:7]
	s_mov_b32 s6, 0x1b54f2af
	s_mov_b32 s7, 0xbe690554
	s_delay_alu instid0(VALU_DEP_1) | instskip(NEXT) | instid1(VALU_DEP_1)
	v_fma_f64 v[12:13], v[6:7], v[14:15], -v[12:13]
	v_add_f64 v[12:13], v[12:13], s[6:7]
	s_mov_b32 s6, 0x652b82fe
	s_mov_b32 s7, 0xbff71547
	s_delay_alu instid0(SALU_CYCLE_1) | instskip(SKIP_2) | instid1(VALU_DEP_2)
	v_mul_f64 v[17:18], v[8:9], s[6:7]
	s_mov_b32 s6, 0x81e3e46f
	s_mov_b32 s7, 0x3e929159
	v_fma_f64 v[14:15], v[6:7], v[12:13], -v[14:15]
	s_delay_alu instid0(VALU_DEP_2) | instskip(NEXT) | instid1(VALU_DEP_2)
	v_rndne_f64_e32 v[17:18], v[17:18]
	v_add_f64 v[14:15], v[14:15], s[6:7]
	s_mov_b32 s6, 0xfefa39ef
	s_mov_b32 s7, 0xbfe62e42
	s_delay_alu instid0(VALU_DEP_2) | instid1(SALU_CYCLE_1)
	v_fma_f64 v[19:20], v[17:18], s[6:7], -v[8:9]
	s_mov_b32 s6, 0x3b39803f
	s_mov_b32 s7, 0xbc7abc9e
	v_cndmask_b32_e64 v8, 0, 0xffffff80, vcc_lo
	v_cmp_class_f64_e64 vcc_lo, v[23:24], 0x260
	s_delay_alu instid0(VALU_DEP_4) | instskip(NEXT) | instid1(VALU_DEP_4)
	v_fma_f64 v[12:13], v[6:7], v[14:15], -v[12:13]
	v_fma_f64 v[19:20], v[17:18], s[6:7], v[19:20]
	s_mov_b32 s6, 0x7f18d3a9
	s_mov_b32 s7, 0xbebebb54
	s_delay_alu instid0(VALU_DEP_2) | instid1(SALU_CYCLE_1)
	v_add_f64 v[12:13], v[12:13], s[6:7]
	s_mov_b32 s6, 0xfca7ab0c
	s_mov_b32 s7, 0x3e928af3
	s_delay_alu instid0(VALU_DEP_2) | instid1(SALU_CYCLE_1)
	v_fma_f64 v[21:22], v[19:20], s[8:9], s[6:7]
	s_mov_b32 s6, 0x623fde64
	s_mov_b32 s7, 0x3ec71dee
	s_delay_alu instid0(VALU_DEP_2) | instskip(NEXT) | instid1(VALU_DEP_2)
	v_fma_f64 v[14:15], v[6:7], v[12:13], -v[14:15]
	v_fma_f64 v[21:22], v[19:20], v[21:22], s[6:7]
	s_mov_b32 s6, 0xcc7470a9
	s_mov_b32 s7, 0x3eed413f
	s_delay_alu instid0(VALU_DEP_2) | instid1(SALU_CYCLE_1)
	v_add_f64 v[14:15], v[14:15], s[6:7]
	s_mov_b32 s6, 0x7c89e6b0
	s_mov_b32 s7, 0x3efa0199
	s_delay_alu instid0(VALU_DEP_2) | instid1(SALU_CYCLE_1)
	v_fma_f64 v[21:22], v[19:20], v[21:22], s[6:7]
	s_mov_b32 s6, 0x14761f6e
	s_mov_b32 s7, 0x3f2a01a0
	s_delay_alu instid0(VALU_DEP_2) | instskip(NEXT) | instid1(VALU_DEP_2)
	;; [unrolled: 13-line block ×4, first 2 shown]
	v_fma_f64 v[12:13], v[6:7], v[14:15], -v[12:13]
	v_fma_f64 v[21:22], v[19:20], v[21:22], s[6:7]
	s_mov_b32 s6, 0x2d4ff71e
	s_mov_b32 s7, 0xbfa019f7
	s_delay_alu instid0(VALU_DEP_2) | instid1(SALU_CYCLE_1)
	v_add_f64 v[12:13], v[12:13], s[6:7]
	s_mov_b32 s6, 11
	s_mov_b32 s7, 0x3fe00000
	s_delay_alu instid0(VALU_DEP_2) | instid1(SALU_CYCLE_1)
	v_fma_f64 v[21:22], v[19:20], v[21:22], s[6:7]
	s_mov_b32 s6, 0x9f4e6907
	s_mov_b32 s7, 0x400385bd
	s_delay_alu instid0(VALU_DEP_2) | instskip(SKIP_2) | instid1(VALU_DEP_4)
	v_fma_f64 v[6:7], v[6:7], v[12:13], -v[14:15]
	v_fma_f64 v[12:13], v[29:30], v[25:26], v[27:28]
	v_cvt_i32_f64_e32 v27, v[17:18]
	v_fma_f64 v[21:22], v[19:20], v[21:22], 1.0
	s_delay_alu instid0(VALU_DEP_4) | instskip(NEXT) | instid1(VALU_DEP_4)
	v_add_f64 v[6:7], v[6:7], s[6:7]
	v_fma_f64 v[17:18], -v[12:13], v[12:13], v[23:24]
	s_delay_alu instid0(VALU_DEP_3) | instskip(NEXT) | instid1(VALU_DEP_3)
	v_fma_f64 v[19:20], v[19:20], v[21:22], 1.0
	v_add_f64 v[6:7], v[6:7], -v[14:15]
	s_delay_alu instid0(VALU_DEP_3) | instskip(NEXT) | instid1(VALU_DEP_3)
	v_fma_f64 v[12:13], v[17:18], v[25:26], v[12:13]
	v_ldexp_f64 v[14:15], v[19:20], v27
	s_delay_alu instid0(VALU_DEP_3) | instskip(NEXT) | instid1(VALU_DEP_3)
	v_mul_f64 v[6:7], v[6:7], 0.5
	v_ldexp_f64 v[8:9], v[12:13], v8
	s_delay_alu instid0(VALU_DEP_3) | instskip(NEXT) | instid1(VALU_DEP_4)
	v_cndmask_b32_e64 v13, 0, v15, s0
	v_cndmask_b32_e64 v12, 0, v14, s0
	s_delay_alu instid0(VALU_DEP_1) | instskip(NEXT) | instid1(VALU_DEP_4)
	v_mul_f64 v[6:7], v[12:13], v[6:7]
	v_dual_cndmask_b32 v9, v9, v24 :: v_dual_cndmask_b32 v8, v8, v23
	s_delay_alu instid0(VALU_DEP_1) | instskip(NEXT) | instid1(VALU_DEP_1)
	v_div_scale_f64 v[12:13], null, v[8:9], v[8:9], v[6:7]
	v_rcp_f64_e32 v[14:15], v[12:13]
	s_waitcnt_depctr 0xfff
	v_fma_f64 v[17:18], -v[12:13], v[14:15], 1.0
	s_delay_alu instid0(VALU_DEP_1) | instskip(NEXT) | instid1(VALU_DEP_1)
	v_fma_f64 v[14:15], v[14:15], v[17:18], v[14:15]
	v_fma_f64 v[17:18], -v[12:13], v[14:15], 1.0
	s_delay_alu instid0(VALU_DEP_1) | instskip(SKIP_1) | instid1(VALU_DEP_1)
	v_fma_f64 v[14:15], v[14:15], v[17:18], v[14:15]
	v_div_scale_f64 v[17:18], vcc_lo, v[6:7], v[8:9], v[6:7]
	v_mul_f64 v[19:20], v[17:18], v[14:15]
	s_delay_alu instid0(VALU_DEP_1) | instskip(NEXT) | instid1(VALU_DEP_1)
	v_fma_f64 v[12:13], -v[12:13], v[19:20], v[17:18]
	v_div_fmas_f64 v[12:13], v[12:13], v[14:15], v[19:20]
	s_delay_alu instid0(VALU_DEP_1)
	v_div_fixup_f64 v[12:13], v[12:13], v[8:9], v[6:7]
.LBB1_46:
	s_or_b32 exec_lo, exec_lo, s5
.LBB1_47:
	s_delay_alu instid0(SALU_CYCLE_1)
	s_or_b32 exec_lo, exec_lo, s4
.LBB1_48:
	s_delay_alu instid0(SALU_CYCLE_1) | instskip(SKIP_2) | instid1(VALU_DEP_2)
	s_or_b32 exec_lo, exec_lo, s1
	v_add_co_u32 v0, vcc_lo, v0, s2
	v_add_co_ci_u32_e32 v1, vcc_lo, s3, v1, vcc_lo
	v_add_co_u32 v0, vcc_lo, v0, v16
	s_delay_alu instid0(VALU_DEP_2)
	v_add_co_ci_u32_e32 v1, vcc_lo, 0, v1, vcc_lo
	s_clause 0x1
	flat_store_b128 v[0:1], v[2:5]
	flat_store_b128 v[0:1], v[10:13] offset:16
	s_waitcnt lgkmcnt(0)
	s_setpc_b64 s[30:31]
.Lfunc_end1:
	.size	_ZN2at6native25elementwise_kernel_helperILb0EZZZNS0_12_GLOBAL__N_130modified_bessel_k0_kernel_cudaERNS_18TensorIteratorBaseEENKUlvE_clEvENKUlvE_clEvEUldE_NS0_6memory8policies10vectorizedILi4ESt5arrayIPcLm2EELi4EEEEEvT0_T1_, .Lfunc_end1-_ZN2at6native25elementwise_kernel_helperILb0EZZZNS0_12_GLOBAL__N_130modified_bessel_k0_kernel_cudaERNS_18TensorIteratorBaseEENKUlvE_clEvENKUlvE_clEvEUldE_NS0_6memory8policies10vectorizedILi4ESt5arrayIPcLm2EELi4EEEEEvT0_T1_
                                        ; -- End function
	.section	.AMDGPU.csdata,"",@progbits
; Function info:
; codeLenInByte = 25624
; NumSgprs: 34
; NumVgprs: 39
; ScratchSize: 0
; MemoryBound: 0
	.section	.text._ZN2at6native29vectorized_elementwise_kernelILi16EZZZNS0_12_GLOBAL__N_130modified_bessel_k0_kernel_cudaERNS_18TensorIteratorBaseEENKUlvE_clEvENKUlvE_clEvEUldE_St5arrayIPcLm2EEEEviT0_T1_,"axG",@progbits,_ZN2at6native29vectorized_elementwise_kernelILi16EZZZNS0_12_GLOBAL__N_130modified_bessel_k0_kernel_cudaERNS_18TensorIteratorBaseEENKUlvE_clEvENKUlvE_clEvEUldE_St5arrayIPcLm2EEEEviT0_T1_,comdat
	.globl	_ZN2at6native29vectorized_elementwise_kernelILi16EZZZNS0_12_GLOBAL__N_130modified_bessel_k0_kernel_cudaERNS_18TensorIteratorBaseEENKUlvE_clEvENKUlvE_clEvEUldE_St5arrayIPcLm2EEEEviT0_T1_ ; -- Begin function _ZN2at6native29vectorized_elementwise_kernelILi16EZZZNS0_12_GLOBAL__N_130modified_bessel_k0_kernel_cudaERNS_18TensorIteratorBaseEENKUlvE_clEvENKUlvE_clEvEUldE_St5arrayIPcLm2EEEEviT0_T1_
	.p2align	8
	.type	_ZN2at6native29vectorized_elementwise_kernelILi16EZZZNS0_12_GLOBAL__N_130modified_bessel_k0_kernel_cudaERNS_18TensorIteratorBaseEENKUlvE_clEvENKUlvE_clEvEUldE_St5arrayIPcLm2EEEEviT0_T1_,@function
_ZN2at6native29vectorized_elementwise_kernelILi16EZZZNS0_12_GLOBAL__N_130modified_bessel_k0_kernel_cudaERNS_18TensorIteratorBaseEENKUlvE_clEvENKUlvE_clEvEUldE_St5arrayIPcLm2EEEEviT0_T1_: ; @_ZN2at6native29vectorized_elementwise_kernelILi16EZZZNS0_12_GLOBAL__N_130modified_bessel_k0_kernel_cudaERNS_18TensorIteratorBaseEENKUlvE_clEvENKUlvE_clEvEUldE_St5arrayIPcLm2EEEEviT0_T1_
; %bb.0:
	s_clause 0x1
	s_load_b32 s2, s[0:1], 0x0
	s_load_b128 s[16:19], s[0:1], 0x8
	s_lshl_b32 s0, s15, 10
	v_mov_b32_e32 v39, v0
	s_mov_b32 s12, s15
	s_mov_b32 s32, 0
	s_waitcnt lgkmcnt(0)
	s_sub_i32 s13, s2, s0
	s_mov_b32 s0, -1
	s_cmpk_gt_i32 s13, 0x3ff
	s_cbranch_scc1 .LBB2_3
; %bb.1:
	s_and_not1_b32 vcc_lo, exec_lo, s0
	s_cbranch_vccz .LBB2_4
.LBB2_2:
	s_endpgm
.LBB2_3:
	v_dual_mov_b32 v31, v39 :: v_dual_mov_b32 v0, s16
	v_dual_mov_b32 v1, s17 :: v_dual_mov_b32 v2, s18
	v_mov_b32_e32 v3, s19
	s_getpc_b64 s[0:1]
	s_add_u32 s0, s0, _ZN2at6native25elementwise_kernel_helperILb0EZZZNS0_12_GLOBAL__N_130modified_bessel_k0_kernel_cudaERNS_18TensorIteratorBaseEENKUlvE_clEvENKUlvE_clEvEUldE_NS0_6memory8policies10vectorizedILi4ESt5arrayIPcLm2EELi4EEEEEvT0_T1_@rel32@lo+4
	s_addc_u32 s1, s1, _ZN2at6native25elementwise_kernel_helperILb0EZZZNS0_12_GLOBAL__N_130modified_bessel_k0_kernel_cudaERNS_18TensorIteratorBaseEENKUlvE_clEvENKUlvE_clEvEUldE_NS0_6memory8policies10vectorizedILi4ESt5arrayIPcLm2EELi4EEEEEvT0_T1_@rel32@hi+12
	s_delay_alu instid0(SALU_CYCLE_1)
	s_swappc_b64 s[30:31], s[0:1]
	s_cbranch_execnz .LBB2_2
.LBB2_4:
	v_dual_mov_b32 v31, v39 :: v_dual_mov_b32 v0, s16
	v_dual_mov_b32 v1, s17 :: v_dual_mov_b32 v2, s18
	;; [unrolled: 1-line block ×3, first 2 shown]
	s_getpc_b64 s[0:1]
	s_add_u32 s0, s0, _ZN2at6native25elementwise_kernel_helperILb0EZZZNS0_12_GLOBAL__N_130modified_bessel_k0_kernel_cudaERNS_18TensorIteratorBaseEENKUlvE_clEvENKUlvE_clEvEUldE_NS0_6memory8policies11unroll_baseILi256ESt5arrayIPcLm2EE23TrivialOffsetCalculatorILi1EjESF_NS8_15LoadWithoutCastENS8_16StoreWithoutCastELi4ELi1EEEEEvT0_T1_@rel32@lo+4
	s_addc_u32 s1, s1, _ZN2at6native25elementwise_kernel_helperILb0EZZZNS0_12_GLOBAL__N_130modified_bessel_k0_kernel_cudaERNS_18TensorIteratorBaseEENKUlvE_clEvENKUlvE_clEvEUldE_NS0_6memory8policies11unroll_baseILi256ESt5arrayIPcLm2EE23TrivialOffsetCalculatorILi1EjESF_NS8_15LoadWithoutCastENS8_16StoreWithoutCastELi4ELi1EEEEEvT0_T1_@rel32@hi+12
	s_delay_alu instid0(SALU_CYCLE_1)
	s_swappc_b64 s[30:31], s[0:1]
	s_endpgm
	.section	.rodata,"a",@progbits
	.p2align	6, 0x0
	.amdhsa_kernel _ZN2at6native29vectorized_elementwise_kernelILi16EZZZNS0_12_GLOBAL__N_130modified_bessel_k0_kernel_cudaERNS_18TensorIteratorBaseEENKUlvE_clEvENKUlvE_clEvEUldE_St5arrayIPcLm2EEEEviT0_T1_
		.amdhsa_group_segment_fixed_size 0
		.amdhsa_private_segment_fixed_size 0
		.amdhsa_kernarg_size 24
		.amdhsa_user_sgpr_count 15
		.amdhsa_user_sgpr_dispatch_ptr 0
		.amdhsa_user_sgpr_queue_ptr 0
		.amdhsa_user_sgpr_kernarg_segment_ptr 1
		.amdhsa_user_sgpr_dispatch_id 0
		.amdhsa_user_sgpr_private_segment_size 0
		.amdhsa_wavefront_size32 1
		.amdhsa_uses_dynamic_stack 0
		.amdhsa_enable_private_segment 0
		.amdhsa_system_sgpr_workgroup_id_x 1
		.amdhsa_system_sgpr_workgroup_id_y 0
		.amdhsa_system_sgpr_workgroup_id_z 0
		.amdhsa_system_sgpr_workgroup_info 0
		.amdhsa_system_vgpr_workitem_id 0
		.amdhsa_next_free_vgpr 52
		.amdhsa_next_free_sgpr 33
		.amdhsa_reserve_vcc 1
		.amdhsa_float_round_mode_32 0
		.amdhsa_float_round_mode_16_64 0
		.amdhsa_float_denorm_mode_32 3
		.amdhsa_float_denorm_mode_16_64 3
		.amdhsa_dx10_clamp 1
		.amdhsa_ieee_mode 1
		.amdhsa_fp16_overflow 0
		.amdhsa_workgroup_processor_mode 1
		.amdhsa_memory_ordered 1
		.amdhsa_forward_progress 0
		.amdhsa_shared_vgpr_count 0
		.amdhsa_exception_fp_ieee_invalid_op 0
		.amdhsa_exception_fp_denorm_src 0
		.amdhsa_exception_fp_ieee_div_zero 0
		.amdhsa_exception_fp_ieee_overflow 0
		.amdhsa_exception_fp_ieee_underflow 0
		.amdhsa_exception_fp_ieee_inexact 0
		.amdhsa_exception_int_div_zero 0
	.end_amdhsa_kernel
	.section	.text._ZN2at6native29vectorized_elementwise_kernelILi16EZZZNS0_12_GLOBAL__N_130modified_bessel_k0_kernel_cudaERNS_18TensorIteratorBaseEENKUlvE_clEvENKUlvE_clEvEUldE_St5arrayIPcLm2EEEEviT0_T1_,"axG",@progbits,_ZN2at6native29vectorized_elementwise_kernelILi16EZZZNS0_12_GLOBAL__N_130modified_bessel_k0_kernel_cudaERNS_18TensorIteratorBaseEENKUlvE_clEvENKUlvE_clEvEUldE_St5arrayIPcLm2EEEEviT0_T1_,comdat
.Lfunc_end2:
	.size	_ZN2at6native29vectorized_elementwise_kernelILi16EZZZNS0_12_GLOBAL__N_130modified_bessel_k0_kernel_cudaERNS_18TensorIteratorBaseEENKUlvE_clEvENKUlvE_clEvEUldE_St5arrayIPcLm2EEEEviT0_T1_, .Lfunc_end2-_ZN2at6native29vectorized_elementwise_kernelILi16EZZZNS0_12_GLOBAL__N_130modified_bessel_k0_kernel_cudaERNS_18TensorIteratorBaseEENKUlvE_clEvENKUlvE_clEvEUldE_St5arrayIPcLm2EEEEviT0_T1_
                                        ; -- End function
	.section	.AMDGPU.csdata,"",@progbits
; Kernel info:
; codeLenInByte = 176
; NumSgprs: 35
; NumVgprs: 52
; ScratchSize: 0
; MemoryBound: 0
; FloatMode: 240
; IeeeMode: 1
; LDSByteSize: 0 bytes/workgroup (compile time only)
; SGPRBlocks: 4
; VGPRBlocks: 6
; NumSGPRsForWavesPerEU: 35
; NumVGPRsForWavesPerEU: 52
; Occupancy: 16
; WaveLimiterHint : 0
; COMPUTE_PGM_RSRC2:SCRATCH_EN: 0
; COMPUTE_PGM_RSRC2:USER_SGPR: 15
; COMPUTE_PGM_RSRC2:TRAP_HANDLER: 0
; COMPUTE_PGM_RSRC2:TGID_X_EN: 1
; COMPUTE_PGM_RSRC2:TGID_Y_EN: 0
; COMPUTE_PGM_RSRC2:TGID_Z_EN: 0
; COMPUTE_PGM_RSRC2:TIDIG_COMP_CNT: 0
	.section	.text._ZN2at6native29vectorized_elementwise_kernelILi8EZZZNS0_12_GLOBAL__N_130modified_bessel_k0_kernel_cudaERNS_18TensorIteratorBaseEENKUlvE_clEvENKUlvE_clEvEUldE_St5arrayIPcLm2EEEEviT0_T1_,"axG",@progbits,_ZN2at6native29vectorized_elementwise_kernelILi8EZZZNS0_12_GLOBAL__N_130modified_bessel_k0_kernel_cudaERNS_18TensorIteratorBaseEENKUlvE_clEvENKUlvE_clEvEUldE_St5arrayIPcLm2EEEEviT0_T1_,comdat
	.globl	_ZN2at6native29vectorized_elementwise_kernelILi8EZZZNS0_12_GLOBAL__N_130modified_bessel_k0_kernel_cudaERNS_18TensorIteratorBaseEENKUlvE_clEvENKUlvE_clEvEUldE_St5arrayIPcLm2EEEEviT0_T1_ ; -- Begin function _ZN2at6native29vectorized_elementwise_kernelILi8EZZZNS0_12_GLOBAL__N_130modified_bessel_k0_kernel_cudaERNS_18TensorIteratorBaseEENKUlvE_clEvENKUlvE_clEvEUldE_St5arrayIPcLm2EEEEviT0_T1_
	.p2align	8
	.type	_ZN2at6native29vectorized_elementwise_kernelILi8EZZZNS0_12_GLOBAL__N_130modified_bessel_k0_kernel_cudaERNS_18TensorIteratorBaseEENKUlvE_clEvENKUlvE_clEvEUldE_St5arrayIPcLm2EEEEviT0_T1_,@function
_ZN2at6native29vectorized_elementwise_kernelILi8EZZZNS0_12_GLOBAL__N_130modified_bessel_k0_kernel_cudaERNS_18TensorIteratorBaseEENKUlvE_clEvENKUlvE_clEvEUldE_St5arrayIPcLm2EEEEviT0_T1_: ; @_ZN2at6native29vectorized_elementwise_kernelILi8EZZZNS0_12_GLOBAL__N_130modified_bessel_k0_kernel_cudaERNS_18TensorIteratorBaseEENKUlvE_clEvENKUlvE_clEvEUldE_St5arrayIPcLm2EEEEviT0_T1_
; %bb.0:
	s_clause 0x1
	s_load_b32 s2, s[0:1], 0x0
	s_load_b128 s[16:19], s[0:1], 0x8
	s_lshl_b32 s0, s15, 10
	v_mov_b32_e32 v39, v0
	s_mov_b32 s12, s15
	s_mov_b32 s32, 0
	s_waitcnt lgkmcnt(0)
	s_sub_i32 s13, s2, s0
	s_mov_b32 s0, -1
	s_cmpk_gt_i32 s13, 0x3ff
	s_cbranch_scc1 .LBB3_3
; %bb.1:
	s_and_not1_b32 vcc_lo, exec_lo, s0
	s_cbranch_vccz .LBB3_4
.LBB3_2:
	s_endpgm
.LBB3_3:
	v_dual_mov_b32 v31, v39 :: v_dual_mov_b32 v0, s16
	v_dual_mov_b32 v1, s17 :: v_dual_mov_b32 v2, s18
	v_mov_b32_e32 v3, s19
	s_getpc_b64 s[0:1]
	s_add_u32 s0, s0, _ZN2at6native25elementwise_kernel_helperILb0EZZZNS0_12_GLOBAL__N_130modified_bessel_k0_kernel_cudaERNS_18TensorIteratorBaseEENKUlvE_clEvENKUlvE_clEvEUldE_NS0_6memory8policies10vectorizedILi4ESt5arrayIPcLm2EELi4EEEEEvT0_T1_@rel32@lo+4
	s_addc_u32 s1, s1, _ZN2at6native25elementwise_kernel_helperILb0EZZZNS0_12_GLOBAL__N_130modified_bessel_k0_kernel_cudaERNS_18TensorIteratorBaseEENKUlvE_clEvENKUlvE_clEvEUldE_NS0_6memory8policies10vectorizedILi4ESt5arrayIPcLm2EELi4EEEEEvT0_T1_@rel32@hi+12
	s_delay_alu instid0(SALU_CYCLE_1)
	s_swappc_b64 s[30:31], s[0:1]
	s_cbranch_execnz .LBB3_2
.LBB3_4:
	v_dual_mov_b32 v31, v39 :: v_dual_mov_b32 v0, s16
	v_dual_mov_b32 v1, s17 :: v_dual_mov_b32 v2, s18
	v_dual_mov_b32 v3, s19 :: v_dual_mov_b32 v4, s13
	s_getpc_b64 s[0:1]
	s_add_u32 s0, s0, _ZN2at6native25elementwise_kernel_helperILb0EZZZNS0_12_GLOBAL__N_130modified_bessel_k0_kernel_cudaERNS_18TensorIteratorBaseEENKUlvE_clEvENKUlvE_clEvEUldE_NS0_6memory8policies11unroll_baseILi256ESt5arrayIPcLm2EE23TrivialOffsetCalculatorILi1EjESF_NS8_15LoadWithoutCastENS8_16StoreWithoutCastELi4ELi1EEEEEvT0_T1_@rel32@lo+4
	s_addc_u32 s1, s1, _ZN2at6native25elementwise_kernel_helperILb0EZZZNS0_12_GLOBAL__N_130modified_bessel_k0_kernel_cudaERNS_18TensorIteratorBaseEENKUlvE_clEvENKUlvE_clEvEUldE_NS0_6memory8policies11unroll_baseILi256ESt5arrayIPcLm2EE23TrivialOffsetCalculatorILi1EjESF_NS8_15LoadWithoutCastENS8_16StoreWithoutCastELi4ELi1EEEEEvT0_T1_@rel32@hi+12
	s_delay_alu instid0(SALU_CYCLE_1)
	s_swappc_b64 s[30:31], s[0:1]
	s_endpgm
	.section	.rodata,"a",@progbits
	.p2align	6, 0x0
	.amdhsa_kernel _ZN2at6native29vectorized_elementwise_kernelILi8EZZZNS0_12_GLOBAL__N_130modified_bessel_k0_kernel_cudaERNS_18TensorIteratorBaseEENKUlvE_clEvENKUlvE_clEvEUldE_St5arrayIPcLm2EEEEviT0_T1_
		.amdhsa_group_segment_fixed_size 0
		.amdhsa_private_segment_fixed_size 0
		.amdhsa_kernarg_size 24
		.amdhsa_user_sgpr_count 15
		.amdhsa_user_sgpr_dispatch_ptr 0
		.amdhsa_user_sgpr_queue_ptr 0
		.amdhsa_user_sgpr_kernarg_segment_ptr 1
		.amdhsa_user_sgpr_dispatch_id 0
		.amdhsa_user_sgpr_private_segment_size 0
		.amdhsa_wavefront_size32 1
		.amdhsa_uses_dynamic_stack 0
		.amdhsa_enable_private_segment 0
		.amdhsa_system_sgpr_workgroup_id_x 1
		.amdhsa_system_sgpr_workgroup_id_y 0
		.amdhsa_system_sgpr_workgroup_id_z 0
		.amdhsa_system_sgpr_workgroup_info 0
		.amdhsa_system_vgpr_workitem_id 0
		.amdhsa_next_free_vgpr 52
		.amdhsa_next_free_sgpr 33
		.amdhsa_reserve_vcc 1
		.amdhsa_float_round_mode_32 0
		.amdhsa_float_round_mode_16_64 0
		.amdhsa_float_denorm_mode_32 3
		.amdhsa_float_denorm_mode_16_64 3
		.amdhsa_dx10_clamp 1
		.amdhsa_ieee_mode 1
		.amdhsa_fp16_overflow 0
		.amdhsa_workgroup_processor_mode 1
		.amdhsa_memory_ordered 1
		.amdhsa_forward_progress 0
		.amdhsa_shared_vgpr_count 0
		.amdhsa_exception_fp_ieee_invalid_op 0
		.amdhsa_exception_fp_denorm_src 0
		.amdhsa_exception_fp_ieee_div_zero 0
		.amdhsa_exception_fp_ieee_overflow 0
		.amdhsa_exception_fp_ieee_underflow 0
		.amdhsa_exception_fp_ieee_inexact 0
		.amdhsa_exception_int_div_zero 0
	.end_amdhsa_kernel
	.section	.text._ZN2at6native29vectorized_elementwise_kernelILi8EZZZNS0_12_GLOBAL__N_130modified_bessel_k0_kernel_cudaERNS_18TensorIteratorBaseEENKUlvE_clEvENKUlvE_clEvEUldE_St5arrayIPcLm2EEEEviT0_T1_,"axG",@progbits,_ZN2at6native29vectorized_elementwise_kernelILi8EZZZNS0_12_GLOBAL__N_130modified_bessel_k0_kernel_cudaERNS_18TensorIteratorBaseEENKUlvE_clEvENKUlvE_clEvEUldE_St5arrayIPcLm2EEEEviT0_T1_,comdat
.Lfunc_end3:
	.size	_ZN2at6native29vectorized_elementwise_kernelILi8EZZZNS0_12_GLOBAL__N_130modified_bessel_k0_kernel_cudaERNS_18TensorIteratorBaseEENKUlvE_clEvENKUlvE_clEvEUldE_St5arrayIPcLm2EEEEviT0_T1_, .Lfunc_end3-_ZN2at6native29vectorized_elementwise_kernelILi8EZZZNS0_12_GLOBAL__N_130modified_bessel_k0_kernel_cudaERNS_18TensorIteratorBaseEENKUlvE_clEvENKUlvE_clEvEUldE_St5arrayIPcLm2EEEEviT0_T1_
                                        ; -- End function
	.section	.AMDGPU.csdata,"",@progbits
; Kernel info:
; codeLenInByte = 176
; NumSgprs: 35
; NumVgprs: 52
; ScratchSize: 0
; MemoryBound: 0
; FloatMode: 240
; IeeeMode: 1
; LDSByteSize: 0 bytes/workgroup (compile time only)
; SGPRBlocks: 4
; VGPRBlocks: 6
; NumSGPRsForWavesPerEU: 35
; NumVGPRsForWavesPerEU: 52
; Occupancy: 16
; WaveLimiterHint : 0
; COMPUTE_PGM_RSRC2:SCRATCH_EN: 0
; COMPUTE_PGM_RSRC2:USER_SGPR: 15
; COMPUTE_PGM_RSRC2:TRAP_HANDLER: 0
; COMPUTE_PGM_RSRC2:TGID_X_EN: 1
; COMPUTE_PGM_RSRC2:TGID_Y_EN: 0
; COMPUTE_PGM_RSRC2:TGID_Z_EN: 0
; COMPUTE_PGM_RSRC2:TIDIG_COMP_CNT: 0
	.section	.text._ZN2at6native29vectorized_elementwise_kernelILi4EZZZNS0_12_GLOBAL__N_130modified_bessel_k0_kernel_cudaERNS_18TensorIteratorBaseEENKUlvE_clEvENKUlvE_clEvEUldE_St5arrayIPcLm2EEEEviT0_T1_,"axG",@progbits,_ZN2at6native29vectorized_elementwise_kernelILi4EZZZNS0_12_GLOBAL__N_130modified_bessel_k0_kernel_cudaERNS_18TensorIteratorBaseEENKUlvE_clEvENKUlvE_clEvEUldE_St5arrayIPcLm2EEEEviT0_T1_,comdat
	.globl	_ZN2at6native29vectorized_elementwise_kernelILi4EZZZNS0_12_GLOBAL__N_130modified_bessel_k0_kernel_cudaERNS_18TensorIteratorBaseEENKUlvE_clEvENKUlvE_clEvEUldE_St5arrayIPcLm2EEEEviT0_T1_ ; -- Begin function _ZN2at6native29vectorized_elementwise_kernelILi4EZZZNS0_12_GLOBAL__N_130modified_bessel_k0_kernel_cudaERNS_18TensorIteratorBaseEENKUlvE_clEvENKUlvE_clEvEUldE_St5arrayIPcLm2EEEEviT0_T1_
	.p2align	8
	.type	_ZN2at6native29vectorized_elementwise_kernelILi4EZZZNS0_12_GLOBAL__N_130modified_bessel_k0_kernel_cudaERNS_18TensorIteratorBaseEENKUlvE_clEvENKUlvE_clEvEUldE_St5arrayIPcLm2EEEEviT0_T1_,@function
_ZN2at6native29vectorized_elementwise_kernelILi4EZZZNS0_12_GLOBAL__N_130modified_bessel_k0_kernel_cudaERNS_18TensorIteratorBaseEENKUlvE_clEvENKUlvE_clEvEUldE_St5arrayIPcLm2EEEEviT0_T1_: ; @_ZN2at6native29vectorized_elementwise_kernelILi4EZZZNS0_12_GLOBAL__N_130modified_bessel_k0_kernel_cudaERNS_18TensorIteratorBaseEENKUlvE_clEvENKUlvE_clEvEUldE_St5arrayIPcLm2EEEEviT0_T1_
; %bb.0:
	s_clause 0x1
	s_load_b32 s2, s[0:1], 0x0
	s_load_b128 s[16:19], s[0:1], 0x8
	s_lshl_b32 s0, s15, 10
	v_mov_b32_e32 v39, v0
	s_mov_b32 s12, s15
	s_mov_b32 s32, 0
	s_waitcnt lgkmcnt(0)
	s_sub_i32 s13, s2, s0
	s_mov_b32 s0, -1
	s_cmpk_gt_i32 s13, 0x3ff
	s_cbranch_scc1 .LBB4_3
; %bb.1:
	s_and_not1_b32 vcc_lo, exec_lo, s0
	s_cbranch_vccz .LBB4_4
.LBB4_2:
	s_endpgm
.LBB4_3:
	v_dual_mov_b32 v31, v39 :: v_dual_mov_b32 v0, s16
	v_dual_mov_b32 v1, s17 :: v_dual_mov_b32 v2, s18
	v_mov_b32_e32 v3, s19
	s_getpc_b64 s[0:1]
	s_add_u32 s0, s0, _ZN2at6native25elementwise_kernel_helperILb0EZZZNS0_12_GLOBAL__N_130modified_bessel_k0_kernel_cudaERNS_18TensorIteratorBaseEENKUlvE_clEvENKUlvE_clEvEUldE_NS0_6memory8policies10vectorizedILi4ESt5arrayIPcLm2EELi4EEEEEvT0_T1_@rel32@lo+4
	s_addc_u32 s1, s1, _ZN2at6native25elementwise_kernel_helperILb0EZZZNS0_12_GLOBAL__N_130modified_bessel_k0_kernel_cudaERNS_18TensorIteratorBaseEENKUlvE_clEvENKUlvE_clEvEUldE_NS0_6memory8policies10vectorizedILi4ESt5arrayIPcLm2EELi4EEEEEvT0_T1_@rel32@hi+12
	s_delay_alu instid0(SALU_CYCLE_1)
	s_swappc_b64 s[30:31], s[0:1]
	s_cbranch_execnz .LBB4_2
.LBB4_4:
	v_dual_mov_b32 v31, v39 :: v_dual_mov_b32 v0, s16
	v_dual_mov_b32 v1, s17 :: v_dual_mov_b32 v2, s18
	;; [unrolled: 1-line block ×3, first 2 shown]
	s_getpc_b64 s[0:1]
	s_add_u32 s0, s0, _ZN2at6native25elementwise_kernel_helperILb0EZZZNS0_12_GLOBAL__N_130modified_bessel_k0_kernel_cudaERNS_18TensorIteratorBaseEENKUlvE_clEvENKUlvE_clEvEUldE_NS0_6memory8policies11unroll_baseILi256ESt5arrayIPcLm2EE23TrivialOffsetCalculatorILi1EjESF_NS8_15LoadWithoutCastENS8_16StoreWithoutCastELi4ELi1EEEEEvT0_T1_@rel32@lo+4
	s_addc_u32 s1, s1, _ZN2at6native25elementwise_kernel_helperILb0EZZZNS0_12_GLOBAL__N_130modified_bessel_k0_kernel_cudaERNS_18TensorIteratorBaseEENKUlvE_clEvENKUlvE_clEvEUldE_NS0_6memory8policies11unroll_baseILi256ESt5arrayIPcLm2EE23TrivialOffsetCalculatorILi1EjESF_NS8_15LoadWithoutCastENS8_16StoreWithoutCastELi4ELi1EEEEEvT0_T1_@rel32@hi+12
	s_delay_alu instid0(SALU_CYCLE_1)
	s_swappc_b64 s[30:31], s[0:1]
	s_endpgm
	.section	.rodata,"a",@progbits
	.p2align	6, 0x0
	.amdhsa_kernel _ZN2at6native29vectorized_elementwise_kernelILi4EZZZNS0_12_GLOBAL__N_130modified_bessel_k0_kernel_cudaERNS_18TensorIteratorBaseEENKUlvE_clEvENKUlvE_clEvEUldE_St5arrayIPcLm2EEEEviT0_T1_
		.amdhsa_group_segment_fixed_size 0
		.amdhsa_private_segment_fixed_size 0
		.amdhsa_kernarg_size 24
		.amdhsa_user_sgpr_count 15
		.amdhsa_user_sgpr_dispatch_ptr 0
		.amdhsa_user_sgpr_queue_ptr 0
		.amdhsa_user_sgpr_kernarg_segment_ptr 1
		.amdhsa_user_sgpr_dispatch_id 0
		.amdhsa_user_sgpr_private_segment_size 0
		.amdhsa_wavefront_size32 1
		.amdhsa_uses_dynamic_stack 0
		.amdhsa_enable_private_segment 0
		.amdhsa_system_sgpr_workgroup_id_x 1
		.amdhsa_system_sgpr_workgroup_id_y 0
		.amdhsa_system_sgpr_workgroup_id_z 0
		.amdhsa_system_sgpr_workgroup_info 0
		.amdhsa_system_vgpr_workitem_id 0
		.amdhsa_next_free_vgpr 52
		.amdhsa_next_free_sgpr 33
		.amdhsa_reserve_vcc 1
		.amdhsa_float_round_mode_32 0
		.amdhsa_float_round_mode_16_64 0
		.amdhsa_float_denorm_mode_32 3
		.amdhsa_float_denorm_mode_16_64 3
		.amdhsa_dx10_clamp 1
		.amdhsa_ieee_mode 1
		.amdhsa_fp16_overflow 0
		.amdhsa_workgroup_processor_mode 1
		.amdhsa_memory_ordered 1
		.amdhsa_forward_progress 0
		.amdhsa_shared_vgpr_count 0
		.amdhsa_exception_fp_ieee_invalid_op 0
		.amdhsa_exception_fp_denorm_src 0
		.amdhsa_exception_fp_ieee_div_zero 0
		.amdhsa_exception_fp_ieee_overflow 0
		.amdhsa_exception_fp_ieee_underflow 0
		.amdhsa_exception_fp_ieee_inexact 0
		.amdhsa_exception_int_div_zero 0
	.end_amdhsa_kernel
	.section	.text._ZN2at6native29vectorized_elementwise_kernelILi4EZZZNS0_12_GLOBAL__N_130modified_bessel_k0_kernel_cudaERNS_18TensorIteratorBaseEENKUlvE_clEvENKUlvE_clEvEUldE_St5arrayIPcLm2EEEEviT0_T1_,"axG",@progbits,_ZN2at6native29vectorized_elementwise_kernelILi4EZZZNS0_12_GLOBAL__N_130modified_bessel_k0_kernel_cudaERNS_18TensorIteratorBaseEENKUlvE_clEvENKUlvE_clEvEUldE_St5arrayIPcLm2EEEEviT0_T1_,comdat
.Lfunc_end4:
	.size	_ZN2at6native29vectorized_elementwise_kernelILi4EZZZNS0_12_GLOBAL__N_130modified_bessel_k0_kernel_cudaERNS_18TensorIteratorBaseEENKUlvE_clEvENKUlvE_clEvEUldE_St5arrayIPcLm2EEEEviT0_T1_, .Lfunc_end4-_ZN2at6native29vectorized_elementwise_kernelILi4EZZZNS0_12_GLOBAL__N_130modified_bessel_k0_kernel_cudaERNS_18TensorIteratorBaseEENKUlvE_clEvENKUlvE_clEvEUldE_St5arrayIPcLm2EEEEviT0_T1_
                                        ; -- End function
	.section	.AMDGPU.csdata,"",@progbits
; Kernel info:
; codeLenInByte = 176
; NumSgprs: 35
; NumVgprs: 52
; ScratchSize: 0
; MemoryBound: 0
; FloatMode: 240
; IeeeMode: 1
; LDSByteSize: 0 bytes/workgroup (compile time only)
; SGPRBlocks: 4
; VGPRBlocks: 6
; NumSGPRsForWavesPerEU: 35
; NumVGPRsForWavesPerEU: 52
; Occupancy: 16
; WaveLimiterHint : 0
; COMPUTE_PGM_RSRC2:SCRATCH_EN: 0
; COMPUTE_PGM_RSRC2:USER_SGPR: 15
; COMPUTE_PGM_RSRC2:TRAP_HANDLER: 0
; COMPUTE_PGM_RSRC2:TGID_X_EN: 1
; COMPUTE_PGM_RSRC2:TGID_Y_EN: 0
; COMPUTE_PGM_RSRC2:TGID_Z_EN: 0
; COMPUTE_PGM_RSRC2:TIDIG_COMP_CNT: 0
	.section	.text._ZN2at6native29vectorized_elementwise_kernelILi2EZZZNS0_12_GLOBAL__N_130modified_bessel_k0_kernel_cudaERNS_18TensorIteratorBaseEENKUlvE_clEvENKUlvE_clEvEUldE_St5arrayIPcLm2EEEEviT0_T1_,"axG",@progbits,_ZN2at6native29vectorized_elementwise_kernelILi2EZZZNS0_12_GLOBAL__N_130modified_bessel_k0_kernel_cudaERNS_18TensorIteratorBaseEENKUlvE_clEvENKUlvE_clEvEUldE_St5arrayIPcLm2EEEEviT0_T1_,comdat
	.globl	_ZN2at6native29vectorized_elementwise_kernelILi2EZZZNS0_12_GLOBAL__N_130modified_bessel_k0_kernel_cudaERNS_18TensorIteratorBaseEENKUlvE_clEvENKUlvE_clEvEUldE_St5arrayIPcLm2EEEEviT0_T1_ ; -- Begin function _ZN2at6native29vectorized_elementwise_kernelILi2EZZZNS0_12_GLOBAL__N_130modified_bessel_k0_kernel_cudaERNS_18TensorIteratorBaseEENKUlvE_clEvENKUlvE_clEvEUldE_St5arrayIPcLm2EEEEviT0_T1_
	.p2align	8
	.type	_ZN2at6native29vectorized_elementwise_kernelILi2EZZZNS0_12_GLOBAL__N_130modified_bessel_k0_kernel_cudaERNS_18TensorIteratorBaseEENKUlvE_clEvENKUlvE_clEvEUldE_St5arrayIPcLm2EEEEviT0_T1_,@function
_ZN2at6native29vectorized_elementwise_kernelILi2EZZZNS0_12_GLOBAL__N_130modified_bessel_k0_kernel_cudaERNS_18TensorIteratorBaseEENKUlvE_clEvENKUlvE_clEvEUldE_St5arrayIPcLm2EEEEviT0_T1_: ; @_ZN2at6native29vectorized_elementwise_kernelILi2EZZZNS0_12_GLOBAL__N_130modified_bessel_k0_kernel_cudaERNS_18TensorIteratorBaseEENKUlvE_clEvENKUlvE_clEvEUldE_St5arrayIPcLm2EEEEviT0_T1_
; %bb.0:
	s_clause 0x1
	s_load_b32 s2, s[0:1], 0x0
	s_load_b128 s[4:7], s[0:1], 0x8
	s_lshl_b32 s0, s15, 10
	s_mov_b32 s1, -1
	s_mov_b32 s32, 0
	s_waitcnt lgkmcnt(0)
	s_sub_i32 s8, s2, s0
	s_delay_alu instid0(SALU_CYCLE_1)
	s_cmpk_gt_i32 s8, 0x3ff
	s_cbranch_scc1 .LBB5_3
; %bb.1:
	s_and_b32 vcc_lo, exec_lo, s1
	s_cbranch_vccnz .LBB5_52
.LBB5_2:
	s_nop 0
	s_sendmsg sendmsg(MSG_DEALLOC_VGPRS)
	s_endpgm
.LBB5_3:
	s_ashr_i32 s1, s0, 31
	v_lshlrev_b32_e32 v15, 4, v0
	s_lshl_b64 s[2:3], s[0:1], 3
	v_mov_b32_e32 v3, 0
	v_mov_b32_e32 v4, 0x7ff00000
	s_add_u32 s0, s6, s2
	s_addc_u32 s1, s7, s3
	global_load_b128 v[9:12], v15, s[0:1]
	v_add_co_u32 v1, s0, s0, v15
	s_delay_alu instid0(VALU_DEP_1) | instskip(SKIP_1) | instid1(VALU_DEP_2)
	v_add_co_ci_u32_e64 v2, null, s1, 0, s0
	s_mov_b32 s1, exec_lo
	v_add_co_u32 v1, vcc_lo, 0x1000, v1
	s_delay_alu instid0(VALU_DEP_2)
	v_add_co_ci_u32_e32 v2, vcc_lo, 0, v2, vcc_lo
	global_load_b128 v[5:8], v[1:2], off
	v_dual_mov_b32 v1, v3 :: v_dual_mov_b32 v2, v4
	s_waitcnt vmcnt(1)
	v_cmpx_neq_f64_e32 0, v[9:10]
	s_cbranch_execz .LBB5_15
; %bb.4:
	v_mov_b32_e32 v1, 0
	v_mov_b32_e32 v2, 0x7ff80000
	s_mov_b32 s9, exec_lo
	v_cmpx_ngt_f64_e32 0, v[9:10]
	s_cbranch_execz .LBB5_14
; %bb.5:
	s_mov_b32 s0, exec_lo
	v_cmpx_ge_f64_e32 2.0, v[9:10]
	s_xor_b32 s10, exec_lo, s0
	s_cbranch_execz .LBB5_11
; %bb.6:
	v_mul_f64 v[1:2], v[9:10], 0.5
	s_mov_b32 s0, exec_lo
                                        ; implicit-def: $vgpr13_vgpr14
	v_cmpx_ge_f64_e32 0x40200000, v[9:10]
	s_xor_b32 s0, exec_lo, s0
	s_cbranch_execz .LBB5_8
; %bb.7:
	s_delay_alu instid0(VALU_DEP_2)
	v_add_f64 v[13:14], v[1:2], -2.0
	s_mov_b32 s12, 0x977da589
	s_mov_b32 s13, 0x3c833362
	s_mov_b32 s17, 0xbc545cb7
	s_mov_b32 s16, 0x2134d0ef
	v_cmp_nlt_f64_e32 vcc_lo, 0x40900000, v[9:10]
	s_delay_alu instid0(VALU_DEP_2) | instskip(SKIP_3) | instid1(VALU_DEP_1)
	v_fma_f64 v[16:17], v[13:14], s[16:17], s[12:13]
	s_mov_b32 s17, 0x3c545cb7
	s_mov_b32 s12, 0x721ebbb4
	;; [unrolled: 1-line block ×3, first 2 shown]
	v_fma_f64 v[18:19], v[13:14], v[16:17], s[16:17]
	s_mov_b32 s16, 0x6a5dcb37
	s_mov_b32 s17, 0x3e5ade15
	s_delay_alu instid0(VALU_DEP_1) | instskip(SKIP_2) | instid1(VALU_DEP_1)
	v_add_f64 v[18:19], v[18:19], s[12:13]
	s_mov_b32 s12, 0x93f65eba
	s_mov_b32 s13, 0x3cdee6d8
	v_fma_f64 v[16:17], v[13:14], v[18:19], -v[16:17]
	s_delay_alu instid0(VALU_DEP_1) | instskip(SKIP_2) | instid1(VALU_DEP_1)
	v_add_f64 v[16:17], v[16:17], s[12:13]
	s_mov_b32 s12, 0xc297fbeb
	s_mov_b32 s13, 0xbd0a5022
	v_fma_f64 v[18:19], v[13:14], v[16:17], -v[18:19]
	;; [unrolled: 5-line block ×20, first 2 shown]
	s_delay_alu instid0(VALU_DEP_1) | instskip(SKIP_2) | instid1(SALU_CYCLE_1)
	v_add_f64 v[18:19], v[18:19], s[12:13]
	s_mov_b32 s12, 0x652b82fe
	s_mov_b32 s13, 0x3ff71547
	v_mul_f64 v[20:21], v[9:10], s[12:13]
	s_mov_b32 s12, 0xf3dde3dd
	s_mov_b32 s13, 0x3f859961
	s_delay_alu instid0(VALU_DEP_2) | instskip(NEXT) | instid1(VALU_DEP_2)
	v_fma_f64 v[16:17], v[13:14], v[18:19], -v[16:17]
	v_rndne_f64_e32 v[20:21], v[20:21]
	s_delay_alu instid0(VALU_DEP_2)
	v_add_f64 v[16:17], v[16:17], s[12:13]
	s_mov_b32 s12, 0xfefa39ef
	s_mov_b32 s13, 0xbfe62e42
	s_delay_alu instid0(VALU_DEP_2) | instid1(SALU_CYCLE_1)
	v_fma_f64 v[22:23], v[20:21], s[12:13], v[9:10]
	s_mov_b32 s12, 0x3b39803f
	s_mov_b32 s13, 0xbc7abc9e
	s_delay_alu instid0(VALU_DEP_2) | instskip(NEXT) | instid1(VALU_DEP_2)
	v_fma_f64 v[18:19], v[13:14], v[16:17], -v[18:19]
	v_fma_f64 v[22:23], v[20:21], s[12:13], v[22:23]
	s_mov_b32 s12, 0xf121b6f0
	s_mov_b32 s13, 0xbf984e9e
	v_cvt_i32_f64_e32 v20, v[20:21]
	s_delay_alu instid0(VALU_DEP_3)
	v_add_f64 v[18:19], v[18:19], s[12:13]
	s_mov_b32 s12, 0xfca7ab0c
	s_mov_b32 s13, 0x3e928af3
	s_delay_alu instid0(VALU_DEP_3) | instid1(SALU_CYCLE_1)
	v_fma_f64 v[24:25], v[22:23], s[16:17], s[12:13]
	s_mov_b32 s12, 0x623fde64
	s_mov_b32 s13, 0x3ec71dee
	s_delay_alu instid0(VALU_DEP_2) | instskip(NEXT) | instid1(VALU_DEP_2)
	v_fma_f64 v[16:17], v[13:14], v[18:19], -v[16:17]
	v_fma_f64 v[24:25], v[22:23], v[24:25], s[12:13]
	s_mov_b32 s12, 0xcea8a32d
	s_mov_b32 s13, 0x3fa93e8a
	s_delay_alu instid0(VALU_DEP_2) | instid1(SALU_CYCLE_1)
	v_add_f64 v[16:17], v[16:17], s[12:13]
	s_mov_b32 s12, 0x7c89e6b0
	s_mov_b32 s13, 0x3efa0199
	s_delay_alu instid0(VALU_DEP_2) | instid1(SALU_CYCLE_1)
	v_fma_f64 v[24:25], v[22:23], v[24:25], s[12:13]
	s_mov_b32 s12, 0x14761f6e
	s_mov_b32 s13, 0x3f2a01a0
	s_delay_alu instid0(VALU_DEP_2) | instskip(NEXT) | instid1(VALU_DEP_2)
	v_fma_f64 v[18:19], v[13:14], v[16:17], -v[18:19]
	v_fma_f64 v[24:25], v[22:23], v[24:25], s[12:13]
	s_mov_b32 s12, 0x342d06ea
	s_mov_b32 s13, 0xbfb84b70
	s_delay_alu instid0(VALU_DEP_2) | instid1(SALU_CYCLE_1)
	v_add_f64 v[18:19], v[18:19], s[12:13]
	s_mov_b32 s12, 0x1852b7b0
	s_mov_b32 s13, 0x3f56c16c
	s_delay_alu instid0(VALU_DEP_2) | instid1(SALU_CYCLE_1)
	;; [unrolled: 13-line block ×4, first 2 shown]
	v_fma_f64 v[24:25], v[22:23], v[24:25], s[12:13]
	s_mov_b32 s12, 0x9035a22a
	s_mov_b32 s13, 0x3fe5a84e
	s_delay_alu instid0(VALU_DEP_2) | instskip(NEXT) | instid1(VALU_DEP_2)
	v_fma_f64 v[13:14], v[13:14], v[18:19], -v[16:17]
	v_fma_f64 v[18:19], v[22:23], v[24:25], 1.0
	s_delay_alu instid0(VALU_DEP_2) | instskip(NEXT) | instid1(VALU_DEP_2)
	v_add_f64 v[13:14], v[13:14], s[12:13]
	v_fma_f64 v[18:19], v[22:23], v[18:19], 1.0
	s_delay_alu instid0(VALU_DEP_2) | instskip(NEXT) | instid1(VALU_DEP_2)
	v_add_f64 v[13:14], v[13:14], -v[16:17]
	v_ldexp_f64 v[16:17], v[18:19], v20
	s_delay_alu instid0(VALU_DEP_2) | instskip(NEXT) | instid1(VALU_DEP_2)
	v_mul_f64 v[13:14], v[13:14], 0.5
	v_cndmask_b32_e32 v17, 0x7ff00000, v17, vcc_lo
	s_delay_alu instid0(VALU_DEP_3) | instskip(NEXT) | instid1(VALU_DEP_1)
	v_cndmask_b32_e32 v16, 0, v16, vcc_lo
	v_mul_f64 v[13:14], v[16:17], v[13:14]
.LBB5_8:
	s_and_not1_saveexec_b32 s11, s0
	s_cbranch_execz .LBB5_10
; %bb.9:
	v_div_scale_f64 v[13:14], null, v[9:10], v[9:10], 0x40400000
	v_div_scale_f64 v[20:21], vcc_lo, 0x40400000, v[9:10], 0x40400000
	s_mov_b32 s12, 0x66119130
	s_mov_b32 s13, 0xbc5646da
	;; [unrolled: 1-line block ×4, first 2 shown]
	v_cmp_nlt_f64_e64 s0, 0x40900000, v[9:10]
	s_delay_alu instid0(VALU_DEP_3) | instskip(SKIP_2) | instid1(VALU_DEP_1)
	v_rcp_f64_e32 v[16:17], v[13:14]
	s_waitcnt_depctr 0xfff
	v_fma_f64 v[18:19], -v[13:14], v[16:17], 1.0
	v_fma_f64 v[16:17], v[16:17], v[18:19], v[16:17]
	s_delay_alu instid0(VALU_DEP_1) | instskip(NEXT) | instid1(VALU_DEP_1)
	v_fma_f64 v[18:19], -v[13:14], v[16:17], 1.0
	v_fma_f64 v[16:17], v[16:17], v[18:19], v[16:17]
	s_delay_alu instid0(VALU_DEP_1) | instskip(NEXT) | instid1(VALU_DEP_1)
	v_mul_f64 v[18:19], v[20:21], v[16:17]
	v_fma_f64 v[13:14], -v[13:14], v[18:19], v[20:21]
	s_delay_alu instid0(VALU_DEP_1) | instskip(SKIP_1) | instid1(VALU_DEP_2)
	v_div_fmas_f64 v[13:14], v[13:14], v[16:17], v[18:19]
	v_cmp_gt_f64_e32 vcc_lo, 0x10000000, v[9:10]
	v_div_fixup_f64 v[13:14], v[13:14], v[9:10], 0x40400000
	v_cndmask_b32_e64 v26, 0, 1, vcc_lo
	s_delay_alu instid0(VALU_DEP_1) | instskip(NEXT) | instid1(VALU_DEP_1)
	v_lshlrev_b32_e32 v26, 8, v26
	v_ldexp_f64 v[26:27], v[9:10], v26
	s_delay_alu instid0(VALU_DEP_4) | instskip(NEXT) | instid1(VALU_DEP_2)
	v_add_f64 v[13:14], v[13:14], -2.0
	v_rsq_f64_e32 v[28:29], v[26:27]
	s_delay_alu instid0(VALU_DEP_1)
	v_fma_f64 v[16:17], v[13:14], s[16:17], s[12:13]
	s_mov_b32 s17, 0x3c60adb7
	s_mov_b32 s12, 0x12d98421
	;; [unrolled: 1-line block ×3, first 2 shown]
	s_waitcnt_depctr 0xfff
	v_mul_f64 v[30:31], v[26:27], v[28:29]
	v_mul_f64 v[28:29], v[28:29], 0.5
	v_fma_f64 v[18:19], v[13:14], v[16:17], s[16:17]
	s_mov_b32 s16, 0x6a5dcb37
	s_mov_b32 s17, 0x3e5ade15
	s_delay_alu instid0(VALU_DEP_2) | instskip(NEXT) | instid1(VALU_DEP_2)
	v_fma_f64 v[32:33], -v[28:29], v[30:31], 0.5
	v_add_f64 v[18:19], v[18:19], s[12:13]
	s_mov_b32 s12, 0x76041cd
	s_mov_b32 s13, 0x3c83f3dd
	s_delay_alu instid0(VALU_DEP_2) | instskip(SKIP_1) | instid1(VALU_DEP_3)
	v_fma_f64 v[30:31], v[30:31], v[32:33], v[30:31]
	v_fma_f64 v[28:29], v[28:29], v[32:33], v[28:29]
	v_fma_f64 v[16:17], v[13:14], v[18:19], -v[16:17]
	s_delay_alu instid0(VALU_DEP_3) | instskip(NEXT) | instid1(VALU_DEP_2)
	v_fma_f64 v[32:33], -v[30:31], v[30:31], v[26:27]
	v_add_f64 v[16:17], v[16:17], s[12:13]
	s_mov_b32 s12, 0xabd21fe4
	s_mov_b32 s13, 0xbcb4600b
	s_delay_alu instid0(VALU_DEP_1) | instskip(NEXT) | instid1(VALU_DEP_1)
	v_fma_f64 v[18:19], v[13:14], v[16:17], -v[18:19]
	v_add_f64 v[18:19], v[18:19], s[12:13]
	s_mov_b32 s12, 0xd908de38
	s_mov_b32 s13, 0xbcb8aee7
	s_delay_alu instid0(VALU_DEP_1) | instskip(NEXT) | instid1(VALU_DEP_1)
	v_fma_f64 v[16:17], v[13:14], v[18:19], -v[16:17]
	;; [unrolled: 5-line block ×14, first 2 shown]
	v_add_f64 v[16:17], v[16:17], s[12:13]
	s_mov_b32 s12, 0x652b82fe
	s_mov_b32 s13, 0x3ff71547
	s_delay_alu instid0(SALU_CYCLE_1) | instskip(SKIP_2) | instid1(VALU_DEP_2)
	v_mul_f64 v[20:21], v[9:10], s[12:13]
	s_mov_b32 s12, 0xa9225b87
	s_mov_b32 s13, 0x3e2d2c64
	v_fma_f64 v[18:19], v[13:14], v[16:17], -v[18:19]
	s_delay_alu instid0(VALU_DEP_2) | instskip(NEXT) | instid1(VALU_DEP_2)
	v_rndne_f64_e32 v[20:21], v[20:21]
	v_add_f64 v[18:19], v[18:19], s[12:13]
	s_mov_b32 s12, 0xfefa39ef
	s_mov_b32 s13, 0xbfe62e42
	s_delay_alu instid0(VALU_DEP_2) | instid1(SALU_CYCLE_1)
	v_fma_f64 v[22:23], v[20:21], s[12:13], v[9:10]
	s_mov_b32 s12, 0x3b39803f
	s_mov_b32 s13, 0xbc7abc9e
	s_delay_alu instid0(VALU_DEP_2) | instskip(NEXT) | instid1(VALU_DEP_2)
	v_fma_f64 v[16:17], v[13:14], v[18:19], -v[16:17]
	v_fma_f64 v[22:23], v[20:21], s[12:13], v[22:23]
	s_mov_b32 s12, 0x80d6d56d
	s_mov_b32 s13, 0x3e585692
	s_delay_alu instid0(VALU_DEP_2) | instid1(SALU_CYCLE_1)
	v_add_f64 v[16:17], v[16:17], s[12:13]
	s_mov_b32 s12, 0xfca7ab0c
	s_mov_b32 s13, 0x3e928af3
	s_delay_alu instid0(VALU_DEP_2) | instid1(SALU_CYCLE_1)
	v_fma_f64 v[24:25], v[22:23], s[16:17], s[12:13]
	s_mov_b32 s12, 0x623fde64
	s_mov_b32 s13, 0x3ec71dee
	s_delay_alu instid0(VALU_DEP_2) | instskip(NEXT) | instid1(VALU_DEP_2)
	v_fma_f64 v[18:19], v[13:14], v[16:17], -v[18:19]
	v_fma_f64 v[24:25], v[22:23], v[24:25], s[12:13]
	s_mov_b32 s12, 0xd9cd616e
	s_mov_b32 s13, 0x3e8b8007
	s_delay_alu instid0(VALU_DEP_2) | instid1(SALU_CYCLE_1)
	;; [unrolled: 13-line block ×5, first 2 shown]
	v_add_f64 v[16:17], v[16:17], s[12:13]
	s_mov_b32 s12, 11
	s_mov_b32 s13, 0x3fe00000
	s_delay_alu instid0(VALU_DEP_2) | instid1(SALU_CYCLE_1)
	v_fma_f64 v[24:25], v[22:23], v[24:25], s[12:13]
	s_mov_b32 s12, 0xaca809cb
	s_mov_b32 s13, 0x3fe9be62
	s_delay_alu instid0(VALU_DEP_2) | instskip(SKIP_2) | instid1(VALU_DEP_4)
	v_fma_f64 v[13:14], v[13:14], v[16:17], -v[18:19]
	v_fma_f64 v[16:17], v[32:33], v[28:29], v[30:31]
	v_cvt_i32_f64_e32 v30, v[20:21]
	v_fma_f64 v[24:25], v[22:23], v[24:25], 1.0
	s_delay_alu instid0(VALU_DEP_4) | instskip(NEXT) | instid1(VALU_DEP_4)
	v_add_f64 v[13:14], v[13:14], s[12:13]
	v_fma_f64 v[20:21], -v[16:17], v[16:17], v[26:27]
	s_delay_alu instid0(VALU_DEP_3) | instskip(NEXT) | instid1(VALU_DEP_3)
	v_fma_f64 v[22:23], v[22:23], v[24:25], 1.0
	v_add_f64 v[13:14], v[13:14], -v[18:19]
	s_delay_alu instid0(VALU_DEP_3) | instskip(SKIP_4) | instid1(VALU_DEP_4)
	v_fma_f64 v[16:17], v[20:21], v[28:29], v[16:17]
	v_cndmask_b32_e64 v20, 0, 0xffffff80, vcc_lo
	v_cmp_class_f64_e64 vcc_lo, v[26:27], 0x260
	v_ldexp_f64 v[18:19], v[22:23], v30
	v_mul_f64 v[13:14], v[13:14], 0.5
	v_ldexp_f64 v[16:17], v[16:17], v20
	s_delay_alu instid0(VALU_DEP_3) | instskip(NEXT) | instid1(VALU_DEP_4)
	v_cndmask_b32_e64 v19, 0x7ff00000, v19, s0
	v_cndmask_b32_e64 v18, 0, v18, s0
	s_delay_alu instid0(VALU_DEP_1) | instskip(NEXT) | instid1(VALU_DEP_4)
	v_mul_f64 v[13:14], v[18:19], v[13:14]
	v_dual_cndmask_b32 v17, v17, v27 :: v_dual_cndmask_b32 v16, v16, v26
	s_delay_alu instid0(VALU_DEP_1) | instskip(NEXT) | instid1(VALU_DEP_1)
	v_div_scale_f64 v[18:19], null, v[16:17], v[16:17], v[13:14]
	v_rcp_f64_e32 v[20:21], v[18:19]
	s_waitcnt_depctr 0xfff
	v_fma_f64 v[22:23], -v[18:19], v[20:21], 1.0
	s_delay_alu instid0(VALU_DEP_1) | instskip(NEXT) | instid1(VALU_DEP_1)
	v_fma_f64 v[20:21], v[20:21], v[22:23], v[20:21]
	v_fma_f64 v[22:23], -v[18:19], v[20:21], 1.0
	s_delay_alu instid0(VALU_DEP_1) | instskip(SKIP_1) | instid1(VALU_DEP_1)
	v_fma_f64 v[20:21], v[20:21], v[22:23], v[20:21]
	v_div_scale_f64 v[22:23], vcc_lo, v[13:14], v[16:17], v[13:14]
	v_mul_f64 v[24:25], v[22:23], v[20:21]
	s_delay_alu instid0(VALU_DEP_1) | instskip(NEXT) | instid1(VALU_DEP_1)
	v_fma_f64 v[18:19], -v[18:19], v[24:25], v[22:23]
	v_div_fmas_f64 v[18:19], v[18:19], v[20:21], v[24:25]
	s_delay_alu instid0(VALU_DEP_1)
	v_div_fixup_f64 v[13:14], v[18:19], v[16:17], v[13:14]
.LBB5_10:
	s_or_b32 exec_lo, exec_lo, s11
	s_delay_alu instid0(VALU_DEP_2)
	v_frexp_mant_f64_e32 v[16:17], v[1:2]
	s_mov_b32 s13, 0x3fe55555
	s_mov_b32 s12, 0x55555555
	v_mov_b32_e32 v18, 0
	s_mov_b32 s16, 0x6b47b09a
	s_mov_b32 s18, 0xbf559e2b
	s_mov_b32 s17, 0x3fc38538
	s_mov_b32 s19, 0x3fc3ab76
	v_fma_f64 v[9:10], v[9:10], v[9:10], -2.0
	s_delay_alu instid0(VALU_DEP_3) | instskip(SKIP_2) | instid1(VALU_DEP_1)
	v_cmp_gt_f64_e32 vcc_lo, s[12:13], v[16:17]
	s_mov_b32 s12, 0x55555780
	v_cndmask_b32_e64 v19, 0x3ff00000, 2.0, vcc_lo
	v_mul_f64 v[16:17], v[16:17], v[18:19]
	s_delay_alu instid0(VALU_DEP_1) | instskip(SKIP_1) | instid1(VALU_DEP_2)
	v_add_f64 v[18:19], v[16:17], 1.0
	v_add_f64 v[24:25], v[16:17], -1.0
	v_rcp_f64_e32 v[20:21], v[18:19]
	v_add_f64 v[26:27], v[18:19], -1.0
	s_delay_alu instid0(VALU_DEP_1) | instskip(SKIP_2) | instid1(VALU_DEP_1)
	v_add_f64 v[16:17], v[16:17], -v[26:27]
	s_waitcnt_depctr 0xfff
	v_fma_f64 v[22:23], -v[18:19], v[20:21], 1.0
	v_fma_f64 v[20:21], v[22:23], v[20:21], v[20:21]
	s_delay_alu instid0(VALU_DEP_1) | instskip(NEXT) | instid1(VALU_DEP_1)
	v_fma_f64 v[22:23], -v[18:19], v[20:21], 1.0
	v_fma_f64 v[20:21], v[22:23], v[20:21], v[20:21]
	s_delay_alu instid0(VALU_DEP_1) | instskip(NEXT) | instid1(VALU_DEP_1)
	v_mul_f64 v[22:23], v[24:25], v[20:21]
	v_mul_f64 v[28:29], v[18:19], v[22:23]
	s_delay_alu instid0(VALU_DEP_1) | instskip(NEXT) | instid1(VALU_DEP_1)
	v_fma_f64 v[18:19], v[22:23], v[18:19], -v[28:29]
	v_fma_f64 v[16:17], v[22:23], v[16:17], v[18:19]
	s_delay_alu instid0(VALU_DEP_1) | instskip(NEXT) | instid1(VALU_DEP_1)
	v_add_f64 v[18:19], v[28:29], v[16:17]
	v_add_f64 v[26:27], v[24:25], -v[18:19]
	v_add_f64 v[28:29], v[18:19], -v[28:29]
	s_delay_alu instid0(VALU_DEP_2) | instskip(NEXT) | instid1(VALU_DEP_2)
	v_add_f64 v[24:25], v[24:25], -v[26:27]
	v_add_f64 v[16:17], v[28:29], -v[16:17]
	v_frexp_exp_i32_f64_e32 v28, v[1:2]
	s_delay_alu instid0(VALU_DEP_3) | instskip(NEXT) | instid1(VALU_DEP_1)
	v_add_f64 v[18:19], v[24:25], -v[18:19]
	v_add_f64 v[16:17], v[16:17], v[18:19]
	s_delay_alu instid0(VALU_DEP_1) | instskip(NEXT) | instid1(VALU_DEP_1)
	v_add_f64 v[16:17], v[26:27], v[16:17]
	v_mul_f64 v[16:17], v[20:21], v[16:17]
	s_delay_alu instid0(VALU_DEP_1) | instskip(NEXT) | instid1(VALU_DEP_1)
	v_add_f64 v[18:19], v[22:23], v[16:17]
	v_mul_f64 v[20:21], v[18:19], v[18:19]
	s_delay_alu instid0(VALU_DEP_1) | instskip(SKIP_3) | instid1(VALU_DEP_2)
	v_fma_f64 v[24:25], v[20:21], s[18:19], s[16:17]
	s_mov_b32 s16, 0xd7f4df2e
	s_mov_b32 s17, 0x3fc7474d
	v_mul_f64 v[26:27], v[18:19], v[20:21]
	v_fma_f64 v[24:25], v[20:21], v[24:25], s[16:17]
	s_mov_b32 s16, 0x16291751
	s_mov_b32 s17, 0x3fcc71c0
	s_delay_alu instid0(VALU_DEP_1) | instid1(SALU_CYCLE_1)
	v_fma_f64 v[24:25], v[20:21], v[24:25], s[16:17]
	s_mov_b32 s16, 0x9b27acf1
	s_mov_b32 s17, 0x3fd24924
	s_delay_alu instid0(VALU_DEP_1) | instid1(SALU_CYCLE_1)
	;; [unrolled: 4-line block ×3, first 2 shown]
	v_fma_f64 v[24:25], v[20:21], v[24:25], s[16:17]
	s_mov_b32 s17, 0x3ca3cee1
	s_mov_b32 s16, 0xe6a7fd77
	s_delay_alu instid0(VALU_DEP_1) | instskip(SKIP_4) | instid1(VALU_DEP_3)
	v_fma_f64 v[20:21], v[20:21], v[24:25], s[12:13]
	v_ldexp_f64 v[24:25], v[18:19], 1
	v_add_f64 v[18:19], v[18:19], -v[22:23]
	s_mov_b32 s12, 0xc384c2aa
	s_mov_b32 s13, 0x3d27fb0a
	v_mul_f64 v[20:21], v[26:27], v[20:21]
	v_subrev_co_ci_u32_e32 v26, vcc_lo, 0, v28, vcc_lo
	v_fma_f64 v[28:29], v[9:10], s[16:17], s[12:13]
	s_mov_b32 s12, 0xfefa39ef
	s_mov_b32 s13, 0x3fe62e42
	s_delay_alu instid0(VALU_DEP_2) | instskip(SKIP_4) | instid1(VALU_DEP_4)
	v_cvt_f64_i32_e32 v[26:27], v26
	v_add_f64 v[16:17], v[16:17], -v[18:19]
	s_mov_b32 s17, 0xbca3cee1
	v_cmp_eq_f64_e32 vcc_lo, 0x7ff00000, v[1:2]
	v_add_f64 v[22:23], v[24:25], v[20:21]
	v_mul_f64 v[30:31], v[26:27], s[12:13]
	s_delay_alu instid0(VALU_DEP_4) | instskip(NEXT) | instid1(VALU_DEP_3)
	v_ldexp_f64 v[16:17], v[16:17], 1
	v_add_f64 v[18:19], v[22:23], -v[24:25]
	v_fma_f64 v[24:25], v[9:10], v[28:29], s[16:17]
	s_delay_alu instid0(VALU_DEP_4) | instskip(SKIP_2) | instid1(VALU_DEP_3)
	v_fma_f64 v[32:33], v[26:27], s[12:13], -v[30:31]
	s_mov_b32 s12, 0x47512144
	s_mov_b32 s13, 0x3da6c25c
	v_add_f64 v[18:19], v[20:21], -v[18:19]
	s_delay_alu instid0(VALU_DEP_3)
	v_add_f64 v[20:21], v[24:25], s[12:13]
	s_mov_b32 s12, 0x3b39803f
	s_mov_b32 s13, 0x3c7abc9e
	s_delay_alu instid0(VALU_DEP_3) | instid1(SALU_CYCLE_1)
	v_fma_f64 v[24:25], v[26:27], s[12:13], v[32:33]
	s_mov_b32 s12, 0x67e58a13
	s_mov_b32 s13, 0x3e205c13
	s_delay_alu instid0(VALU_DEP_3) | instskip(NEXT) | instid1(VALU_DEP_3)
	v_add_f64 v[16:17], v[16:17], v[18:19]
	v_fma_f64 v[18:19], v[9:10], v[20:21], -v[28:29]
	s_delay_alu instid0(VALU_DEP_3) | instskip(NEXT) | instid1(VALU_DEP_3)
	v_add_f64 v[26:27], v[30:31], v[24:25]
	v_add_f64 v[28:29], v[22:23], v[16:17]
	s_delay_alu instid0(VALU_DEP_3) | instskip(SKIP_2) | instid1(VALU_DEP_3)
	v_add_f64 v[18:19], v[18:19], s[12:13]
	s_mov_b32 s12, 0xe7f95efc
	s_mov_b32 s13, 0x3e9102bc
	v_add_f64 v[30:31], v[26:27], -v[30:31]
	s_delay_alu instid0(VALU_DEP_3) | instskip(NEXT) | instid1(VALU_DEP_3)
	v_add_f64 v[32:33], v[26:27], v[28:29]
	v_fma_f64 v[20:21], v[9:10], v[18:19], -v[20:21]
	v_add_f64 v[22:23], v[28:29], -v[22:23]
	s_delay_alu instid0(VALU_DEP_4) | instskip(NEXT) | instid1(VALU_DEP_4)
	v_add_f64 v[24:25], v[24:25], -v[30:31]
	v_add_f64 v[34:35], v[32:33], -v[26:27]
	s_delay_alu instid0(VALU_DEP_4) | instskip(NEXT) | instid1(VALU_DEP_4)
	v_add_f64 v[20:21], v[20:21], s[12:13]
	v_add_f64 v[16:17], v[16:17], -v[22:23]
	s_mov_b32 s12, 0xfe8cfca0
	s_mov_b32 s13, 0x3ef7f900
	s_delay_alu instid0(VALU_DEP_3) | instskip(NEXT) | instid1(VALU_DEP_3)
	v_add_f64 v[36:37], v[32:33], -v[34:35]
	v_fma_f64 v[18:19], v[9:10], v[20:21], -v[18:19]
	v_add_f64 v[22:23], v[28:29], -v[34:35]
	s_delay_alu instid0(VALU_DEP_4) | instskip(NEXT) | instid1(VALU_DEP_4)
	v_add_f64 v[28:29], v[24:25], v[16:17]
	v_add_f64 v[26:27], v[26:27], -v[36:37]
	s_delay_alu instid0(VALU_DEP_4) | instskip(SKIP_2) | instid1(VALU_DEP_2)
	v_add_f64 v[18:19], v[18:19], s[12:13]
	s_mov_b32 s12, 0x75633d73
	s_mov_b32 s13, 0x3f54b82e
	v_add_f64 v[22:23], v[22:23], v[26:27]
	s_delay_alu instid0(VALU_DEP_2) | instskip(SKIP_1) | instid1(VALU_DEP_3)
	v_fma_f64 v[20:21], v[9:10], v[18:19], -v[20:21]
	v_add_f64 v[26:27], v[28:29], -v[24:25]
	v_add_f64 v[22:23], v[28:29], v[22:23]
	s_delay_alu instid0(VALU_DEP_3) | instskip(NEXT) | instid1(VALU_DEP_3)
	v_add_f64 v[20:21], v[20:21], s[12:13]
	v_add_f64 v[28:29], v[28:29], -v[26:27]
	v_add_f64 v[16:17], v[16:17], -v[26:27]
	s_mov_b32 s12, 0x554a9085
	s_mov_b32 s13, 0x3fa26bf6
	s_delay_alu instid0(VALU_DEP_4) | instskip(NEXT) | instid1(VALU_DEP_4)
	v_add_f64 v[30:31], v[32:33], v[22:23]
	v_fma_f64 v[18:19], v[9:10], v[20:21], -v[18:19]
	s_delay_alu instid0(VALU_DEP_4) | instskip(NEXT) | instid1(VALU_DEP_3)
	v_add_f64 v[24:25], v[24:25], -v[28:29]
	v_add_f64 v[26:27], v[30:31], -v[32:33]
	s_delay_alu instid0(VALU_DEP_3) | instskip(NEXT) | instid1(VALU_DEP_3)
	v_add_f64 v[18:19], v[18:19], s[12:13]
	v_add_f64 v[16:17], v[16:17], v[24:25]
	s_mov_b32 s12, 0x81213db9
	s_mov_b32 s13, 0x3fd608d8
	s_delay_alu instid0(VALU_DEP_3) | instskip(NEXT) | instid1(VALU_DEP_3)
	v_add_f64 v[22:23], v[22:23], -v[26:27]
	v_fma_f64 v[20:21], v[9:10], v[18:19], -v[20:21]
	s_delay_alu instid0(VALU_DEP_2) | instskip(NEXT) | instid1(VALU_DEP_2)
	v_add_f64 v[16:17], v[16:17], v[22:23]
	v_add_f64 v[20:21], v[20:21], s[12:13]
	s_mov_b32 s12, 0xe9d2f61f
	s_mov_b32 s13, 0xbfe12166
	s_delay_alu instid0(VALU_DEP_2) | instskip(NEXT) | instid1(VALU_DEP_2)
	v_add_f64 v[16:17], v[30:31], v[16:17]
	v_fma_f64 v[9:10], v[9:10], v[20:21], -v[18:19]
	s_delay_alu instid0(VALU_DEP_2) | instskip(SKIP_1) | instid1(VALU_DEP_3)
	v_dual_cndmask_b32 v17, v17, v2 :: v_dual_cndmask_b32 v16, v16, v1
	v_cmp_neq_f64_e32 vcc_lo, 0, v[1:2]
	v_add_f64 v[1:2], v[9:10], s[12:13]
	s_delay_alu instid0(VALU_DEP_3) | instskip(NEXT) | instid1(VALU_DEP_4)
	v_cndmask_b32_e32 v10, 0xfff00000, v17, vcc_lo
	v_cndmask_b32_e32 v9, 0, v16, vcc_lo
	s_delay_alu instid0(VALU_DEP_3) | instskip(NEXT) | instid1(VALU_DEP_2)
	v_add_f64 v[1:2], v[1:2], -v[18:19]
	v_mul_f64 v[9:10], v[9:10], v[13:14]
	s_delay_alu instid0(VALU_DEP_1)
	v_fma_f64 v[1:2], v[1:2], 0.5, -v[9:10]
.LBB5_11:
	s_and_not1_saveexec_b32 s10, s10
	s_cbranch_execz .LBB5_13
; %bb.12:
	v_div_scale_f64 v[1:2], null, v[9:10], v[9:10], 0x40200000
	v_div_scale_f64 v[18:19], vcc_lo, 0x40200000, v[9:10], 0x40200000
	s_mov_b32 s12, 0x93812603
	s_mov_b32 s13, 0xbc72fecc
	s_mov_b32 s17, 0x3c5871a5
	s_mov_b32 s16, 0xcf8c9ee1
	v_cmp_nlt_f64_e64 s0, 0x4090cc00, v[9:10]
	s_delay_alu instid0(VALU_DEP_3) | instskip(SKIP_2) | instid1(VALU_DEP_1)
	v_rcp_f64_e32 v[13:14], v[1:2]
	s_waitcnt_depctr 0xfff
	v_fma_f64 v[16:17], -v[1:2], v[13:14], 1.0
	v_fma_f64 v[13:14], v[13:14], v[16:17], v[13:14]
	s_delay_alu instid0(VALU_DEP_1) | instskip(NEXT) | instid1(VALU_DEP_1)
	v_fma_f64 v[16:17], -v[1:2], v[13:14], 1.0
	v_fma_f64 v[13:14], v[13:14], v[16:17], v[13:14]
	s_delay_alu instid0(VALU_DEP_1) | instskip(NEXT) | instid1(VALU_DEP_1)
	v_mul_f64 v[16:17], v[18:19], v[13:14]
	v_fma_f64 v[1:2], -v[1:2], v[16:17], v[18:19]
	s_delay_alu instid0(VALU_DEP_1) | instskip(SKIP_1) | instid1(VALU_DEP_2)
	v_div_fmas_f64 v[1:2], v[1:2], v[13:14], v[16:17]
	v_cmp_gt_f64_e32 vcc_lo, 0x10000000, v[9:10]
	v_div_fixup_f64 v[1:2], v[1:2], v[9:10], 0x40200000
	v_cndmask_b32_e64 v24, 0, 1, vcc_lo
	s_delay_alu instid0(VALU_DEP_1) | instskip(NEXT) | instid1(VALU_DEP_1)
	v_lshlrev_b32_e32 v24, 8, v24
	v_ldexp_f64 v[24:25], v[9:10], v24
	s_delay_alu instid0(VALU_DEP_4) | instskip(NEXT) | instid1(VALU_DEP_2)
	v_add_f64 v[1:2], v[1:2], -2.0
	v_rsq_f64_e32 v[26:27], v[24:25]
	s_delay_alu instid0(VALU_DEP_1)
	v_fma_f64 v[13:14], v[1:2], s[16:17], s[12:13]
	s_mov_b32 s17, 0xbc5871a5
	s_mov_b32 s12, 0x41a8cdf4
	;; [unrolled: 1-line block ×3, first 2 shown]
	s_waitcnt_depctr 0xfff
	v_mul_f64 v[28:29], v[24:25], v[26:27]
	v_mul_f64 v[26:27], v[26:27], 0.5
	v_fma_f64 v[16:17], v[1:2], v[13:14], s[16:17]
	s_mov_b32 s16, 0x6a5dcb37
	s_mov_b32 s17, 0x3e5ade15
	s_delay_alu instid0(VALU_DEP_2) | instskip(NEXT) | instid1(VALU_DEP_2)
	v_fma_f64 v[30:31], -v[26:27], v[28:29], 0.5
	v_add_f64 v[16:17], v[16:17], s[12:13]
	s_mov_b32 s12, 0x74d77641
	s_mov_b32 s13, 0xbca82f94
	s_delay_alu instid0(VALU_DEP_2) | instskip(SKIP_1) | instid1(VALU_DEP_3)
	v_fma_f64 v[28:29], v[28:29], v[30:31], v[28:29]
	v_fma_f64 v[26:27], v[26:27], v[30:31], v[26:27]
	v_fma_f64 v[13:14], v[1:2], v[16:17], -v[13:14]
	s_delay_alu instid0(VALU_DEP_3) | instskip(NEXT) | instid1(VALU_DEP_2)
	v_fma_f64 v[30:31], -v[28:29], v[28:29], v[24:25]
	v_add_f64 v[13:14], v[13:14], s[12:13]
	s_mov_b32 s12, 0x6b94785b
	s_mov_b32 s13, 0x3cc3dbf9
	s_delay_alu instid0(VALU_DEP_1) | instskip(NEXT) | instid1(VALU_DEP_1)
	v_fma_f64 v[16:17], v[1:2], v[13:14], -v[16:17]
	v_add_f64 v[16:17], v[16:17], s[12:13]
	s_mov_b32 s12, 0xecfadd36
	s_mov_b32 s13, 0xbce0a690
	s_delay_alu instid0(VALU_DEP_1) | instskip(NEXT) | instid1(VALU_DEP_1)
	v_fma_f64 v[13:14], v[1:2], v[16:17], -v[13:14]
	;; [unrolled: 5-line block ×14, first 2 shown]
	v_add_f64 v[13:14], v[13:14], s[12:13]
	s_mov_b32 s12, 0x652b82fe
	s_mov_b32 s13, 0xbff71547
	s_delay_alu instid0(SALU_CYCLE_1) | instskip(SKIP_2) | instid1(VALU_DEP_2)
	v_mul_f64 v[18:19], v[9:10], s[12:13]
	s_mov_b32 s12, 0x81e3e46f
	s_mov_b32 s13, 0x3e929159
	v_fma_f64 v[16:17], v[1:2], v[13:14], -v[16:17]
	s_delay_alu instid0(VALU_DEP_2) | instskip(NEXT) | instid1(VALU_DEP_2)
	v_rndne_f64_e32 v[18:19], v[18:19]
	v_add_f64 v[16:17], v[16:17], s[12:13]
	s_mov_b32 s12, 0xfefa39ef
	s_mov_b32 s13, 0xbfe62e42
	s_delay_alu instid0(VALU_DEP_2) | instid1(SALU_CYCLE_1)
	v_fma_f64 v[20:21], v[18:19], s[12:13], -v[9:10]
	s_mov_b32 s12, 0x3b39803f
	s_mov_b32 s13, 0xbc7abc9e
	v_cndmask_b32_e64 v9, 0, 0xffffff80, vcc_lo
	v_cmp_class_f64_e64 vcc_lo, v[24:25], 0x260
	s_delay_alu instid0(VALU_DEP_4) | instskip(NEXT) | instid1(VALU_DEP_4)
	v_fma_f64 v[13:14], v[1:2], v[16:17], -v[13:14]
	v_fma_f64 v[20:21], v[18:19], s[12:13], v[20:21]
	s_mov_b32 s12, 0x7f18d3a9
	s_mov_b32 s13, 0xbebebb54
	s_delay_alu instid0(VALU_DEP_2) | instid1(SALU_CYCLE_1)
	v_add_f64 v[13:14], v[13:14], s[12:13]
	s_mov_b32 s12, 0xfca7ab0c
	s_mov_b32 s13, 0x3e928af3
	s_delay_alu instid0(VALU_DEP_2) | instid1(SALU_CYCLE_1)
	v_fma_f64 v[22:23], v[20:21], s[16:17], s[12:13]
	s_mov_b32 s12, 0x623fde64
	s_mov_b32 s13, 0x3ec71dee
	s_delay_alu instid0(VALU_DEP_2) | instskip(NEXT) | instid1(VALU_DEP_2)
	v_fma_f64 v[16:17], v[1:2], v[13:14], -v[16:17]
	v_fma_f64 v[22:23], v[20:21], v[22:23], s[12:13]
	s_mov_b32 s12, 0xcc7470a9
	s_mov_b32 s13, 0x3eed413f
	s_delay_alu instid0(VALU_DEP_2) | instid1(SALU_CYCLE_1)
	v_add_f64 v[16:17], v[16:17], s[12:13]
	s_mov_b32 s12, 0x7c89e6b0
	s_mov_b32 s13, 0x3efa0199
	s_delay_alu instid0(VALU_DEP_2) | instid1(SALU_CYCLE_1)
	v_fma_f64 v[22:23], v[20:21], v[22:23], s[12:13]
	s_mov_b32 s12, 0x14761f6e
	s_mov_b32 s13, 0x3f2a01a0
	s_delay_alu instid0(VALU_DEP_2) | instskip(NEXT) | instid1(VALU_DEP_2)
	;; [unrolled: 13-line block ×4, first 2 shown]
	v_fma_f64 v[13:14], v[1:2], v[16:17], -v[13:14]
	v_fma_f64 v[22:23], v[20:21], v[22:23], s[12:13]
	s_mov_b32 s12, 0x2d4ff71e
	s_mov_b32 s13, 0xbfa019f7
	s_delay_alu instid0(VALU_DEP_2) | instid1(SALU_CYCLE_1)
	v_add_f64 v[13:14], v[13:14], s[12:13]
	s_mov_b32 s12, 11
	s_mov_b32 s13, 0x3fe00000
	s_delay_alu instid0(VALU_DEP_2) | instid1(SALU_CYCLE_1)
	v_fma_f64 v[22:23], v[20:21], v[22:23], s[12:13]
	s_mov_b32 s12, 0x9f4e6907
	s_mov_b32 s13, 0x400385bd
	s_delay_alu instid0(VALU_DEP_2) | instskip(SKIP_2) | instid1(VALU_DEP_4)
	v_fma_f64 v[1:2], v[1:2], v[13:14], -v[16:17]
	v_fma_f64 v[13:14], v[30:31], v[26:27], v[28:29]
	v_cvt_i32_f64_e32 v28, v[18:19]
	v_fma_f64 v[22:23], v[20:21], v[22:23], 1.0
	s_delay_alu instid0(VALU_DEP_4) | instskip(NEXT) | instid1(VALU_DEP_4)
	v_add_f64 v[1:2], v[1:2], s[12:13]
	v_fma_f64 v[18:19], -v[13:14], v[13:14], v[24:25]
	s_delay_alu instid0(VALU_DEP_3) | instskip(NEXT) | instid1(VALU_DEP_3)
	v_fma_f64 v[20:21], v[20:21], v[22:23], 1.0
	v_add_f64 v[1:2], v[1:2], -v[16:17]
	s_delay_alu instid0(VALU_DEP_3) | instskip(NEXT) | instid1(VALU_DEP_3)
	v_fma_f64 v[13:14], v[18:19], v[26:27], v[13:14]
	v_ldexp_f64 v[16:17], v[20:21], v28
	s_delay_alu instid0(VALU_DEP_3) | instskip(NEXT) | instid1(VALU_DEP_3)
	v_mul_f64 v[1:2], v[1:2], 0.5
	v_ldexp_f64 v[9:10], v[13:14], v9
	s_delay_alu instid0(VALU_DEP_3) | instskip(NEXT) | instid1(VALU_DEP_4)
	v_cndmask_b32_e64 v14, 0, v17, s0
	v_cndmask_b32_e64 v13, 0, v16, s0
	s_delay_alu instid0(VALU_DEP_1) | instskip(NEXT) | instid1(VALU_DEP_4)
	v_mul_f64 v[1:2], v[13:14], v[1:2]
	v_dual_cndmask_b32 v10, v10, v25 :: v_dual_cndmask_b32 v9, v9, v24
	s_delay_alu instid0(VALU_DEP_1) | instskip(NEXT) | instid1(VALU_DEP_1)
	v_div_scale_f64 v[13:14], null, v[9:10], v[9:10], v[1:2]
	v_rcp_f64_e32 v[16:17], v[13:14]
	s_waitcnt_depctr 0xfff
	v_fma_f64 v[18:19], -v[13:14], v[16:17], 1.0
	s_delay_alu instid0(VALU_DEP_1) | instskip(NEXT) | instid1(VALU_DEP_1)
	v_fma_f64 v[16:17], v[16:17], v[18:19], v[16:17]
	v_fma_f64 v[18:19], -v[13:14], v[16:17], 1.0
	s_delay_alu instid0(VALU_DEP_1) | instskip(SKIP_1) | instid1(VALU_DEP_1)
	v_fma_f64 v[16:17], v[16:17], v[18:19], v[16:17]
	v_div_scale_f64 v[18:19], vcc_lo, v[1:2], v[9:10], v[1:2]
	v_mul_f64 v[20:21], v[18:19], v[16:17]
	s_delay_alu instid0(VALU_DEP_1) | instskip(NEXT) | instid1(VALU_DEP_1)
	v_fma_f64 v[13:14], -v[13:14], v[20:21], v[18:19]
	v_div_fmas_f64 v[13:14], v[13:14], v[16:17], v[20:21]
	s_delay_alu instid0(VALU_DEP_1)
	v_div_fixup_f64 v[1:2], v[13:14], v[9:10], v[1:2]
.LBB5_13:
	s_or_b32 exec_lo, exec_lo, s10
.LBB5_14:
	s_delay_alu instid0(SALU_CYCLE_1)
	s_or_b32 exec_lo, exec_lo, s9
.LBB5_15:
	s_delay_alu instid0(SALU_CYCLE_1) | instskip(NEXT) | instid1(SALU_CYCLE_1)
	s_or_b32 exec_lo, exec_lo, s1
	s_mov_b32 s1, exec_lo
	v_cmpx_neq_f64_e32 0, v[11:12]
	s_cbranch_execz .LBB5_27
; %bb.16:
	v_mov_b32_e32 v3, 0
	v_mov_b32_e32 v4, 0x7ff80000
	s_mov_b32 s9, exec_lo
	v_cmpx_ngt_f64_e32 0, v[11:12]
	s_cbranch_execz .LBB5_26
; %bb.17:
	s_mov_b32 s0, exec_lo
	v_cmpx_ge_f64_e32 2.0, v[11:12]
	s_xor_b32 s10, exec_lo, s0
	s_cbranch_execz .LBB5_23
; %bb.18:
	v_mul_f64 v[3:4], v[11:12], 0.5
	s_mov_b32 s0, exec_lo
                                        ; implicit-def: $vgpr9_vgpr10
	v_cmpx_ge_f64_e32 0x40200000, v[11:12]
	s_xor_b32 s0, exec_lo, s0
	s_cbranch_execz .LBB5_20
; %bb.19:
	s_delay_alu instid0(VALU_DEP_2)
	v_add_f64 v[9:10], v[3:4], -2.0
	s_mov_b32 s12, 0x977da589
	s_mov_b32 s13, 0x3c833362
	;; [unrolled: 1-line block ×4, first 2 shown]
	v_cmp_nlt_f64_e32 vcc_lo, 0x40900000, v[11:12]
	s_delay_alu instid0(VALU_DEP_2) | instskip(SKIP_3) | instid1(VALU_DEP_1)
	v_fma_f64 v[13:14], v[9:10], s[16:17], s[12:13]
	s_mov_b32 s17, 0x3c545cb7
	s_mov_b32 s12, 0x721ebbb4
	;; [unrolled: 1-line block ×3, first 2 shown]
	v_fma_f64 v[16:17], v[9:10], v[13:14], s[16:17]
	s_mov_b32 s16, 0x6a5dcb37
	s_mov_b32 s17, 0x3e5ade15
	s_delay_alu instid0(VALU_DEP_1) | instskip(SKIP_2) | instid1(VALU_DEP_1)
	v_add_f64 v[16:17], v[16:17], s[12:13]
	s_mov_b32 s12, 0x93f65eba
	s_mov_b32 s13, 0x3cdee6d8
	v_fma_f64 v[13:14], v[9:10], v[16:17], -v[13:14]
	s_delay_alu instid0(VALU_DEP_1) | instskip(SKIP_2) | instid1(VALU_DEP_1)
	v_add_f64 v[13:14], v[13:14], s[12:13]
	s_mov_b32 s12, 0xc297fbeb
	s_mov_b32 s13, 0xbd0a5022
	v_fma_f64 v[16:17], v[9:10], v[13:14], -v[16:17]
	;; [unrolled: 5-line block ×20, first 2 shown]
	s_delay_alu instid0(VALU_DEP_1) | instskip(SKIP_2) | instid1(SALU_CYCLE_1)
	v_add_f64 v[16:17], v[16:17], s[12:13]
	s_mov_b32 s12, 0x652b82fe
	s_mov_b32 s13, 0x3ff71547
	v_mul_f64 v[18:19], v[11:12], s[12:13]
	s_mov_b32 s12, 0xf3dde3dd
	s_mov_b32 s13, 0x3f859961
	s_delay_alu instid0(VALU_DEP_2) | instskip(NEXT) | instid1(VALU_DEP_2)
	v_fma_f64 v[13:14], v[9:10], v[16:17], -v[13:14]
	v_rndne_f64_e32 v[18:19], v[18:19]
	s_delay_alu instid0(VALU_DEP_2)
	v_add_f64 v[13:14], v[13:14], s[12:13]
	s_mov_b32 s12, 0xfefa39ef
	s_mov_b32 s13, 0xbfe62e42
	s_delay_alu instid0(VALU_DEP_2) | instid1(SALU_CYCLE_1)
	v_fma_f64 v[20:21], v[18:19], s[12:13], v[11:12]
	s_mov_b32 s12, 0x3b39803f
	s_mov_b32 s13, 0xbc7abc9e
	s_delay_alu instid0(VALU_DEP_2) | instskip(NEXT) | instid1(VALU_DEP_2)
	v_fma_f64 v[16:17], v[9:10], v[13:14], -v[16:17]
	v_fma_f64 v[20:21], v[18:19], s[12:13], v[20:21]
	s_mov_b32 s12, 0xf121b6f0
	s_mov_b32 s13, 0xbf984e9e
	v_cvt_i32_f64_e32 v18, v[18:19]
	s_delay_alu instid0(VALU_DEP_3)
	v_add_f64 v[16:17], v[16:17], s[12:13]
	s_mov_b32 s12, 0xfca7ab0c
	s_mov_b32 s13, 0x3e928af3
	s_delay_alu instid0(VALU_DEP_3) | instid1(SALU_CYCLE_1)
	v_fma_f64 v[22:23], v[20:21], s[16:17], s[12:13]
	s_mov_b32 s12, 0x623fde64
	s_mov_b32 s13, 0x3ec71dee
	s_delay_alu instid0(VALU_DEP_2) | instskip(NEXT) | instid1(VALU_DEP_2)
	v_fma_f64 v[13:14], v[9:10], v[16:17], -v[13:14]
	v_fma_f64 v[22:23], v[20:21], v[22:23], s[12:13]
	s_mov_b32 s12, 0xcea8a32d
	s_mov_b32 s13, 0x3fa93e8a
	s_delay_alu instid0(VALU_DEP_2) | instid1(SALU_CYCLE_1)
	v_add_f64 v[13:14], v[13:14], s[12:13]
	s_mov_b32 s12, 0x7c89e6b0
	s_mov_b32 s13, 0x3efa0199
	s_delay_alu instid0(VALU_DEP_2) | instid1(SALU_CYCLE_1)
	v_fma_f64 v[22:23], v[20:21], v[22:23], s[12:13]
	s_mov_b32 s12, 0x14761f6e
	s_mov_b32 s13, 0x3f2a01a0
	s_delay_alu instid0(VALU_DEP_2) | instskip(NEXT) | instid1(VALU_DEP_2)
	v_fma_f64 v[16:17], v[9:10], v[13:14], -v[16:17]
	v_fma_f64 v[22:23], v[20:21], v[22:23], s[12:13]
	s_mov_b32 s12, 0x342d06ea
	s_mov_b32 s13, 0xbfb84b70
	s_delay_alu instid0(VALU_DEP_2) | instid1(SALU_CYCLE_1)
	v_add_f64 v[16:17], v[16:17], s[12:13]
	s_mov_b32 s12, 0x1852b7b0
	s_mov_b32 s13, 0x3f56c16c
	s_delay_alu instid0(VALU_DEP_2) | instid1(SALU_CYCLE_1)
	;; [unrolled: 13-line block ×4, first 2 shown]
	v_fma_f64 v[22:23], v[20:21], v[22:23], s[12:13]
	s_mov_b32 s12, 0x9035a22a
	s_mov_b32 s13, 0x3fe5a84e
	s_delay_alu instid0(VALU_DEP_2) | instskip(NEXT) | instid1(VALU_DEP_2)
	v_fma_f64 v[9:10], v[9:10], v[16:17], -v[13:14]
	v_fma_f64 v[16:17], v[20:21], v[22:23], 1.0
	s_delay_alu instid0(VALU_DEP_2) | instskip(NEXT) | instid1(VALU_DEP_2)
	v_add_f64 v[9:10], v[9:10], s[12:13]
	v_fma_f64 v[16:17], v[20:21], v[16:17], 1.0
	s_delay_alu instid0(VALU_DEP_2) | instskip(NEXT) | instid1(VALU_DEP_2)
	v_add_f64 v[9:10], v[9:10], -v[13:14]
	v_ldexp_f64 v[13:14], v[16:17], v18
	s_delay_alu instid0(VALU_DEP_2) | instskip(NEXT) | instid1(VALU_DEP_2)
	v_mul_f64 v[9:10], v[9:10], 0.5
	v_cndmask_b32_e32 v14, 0x7ff00000, v14, vcc_lo
	s_delay_alu instid0(VALU_DEP_3) | instskip(NEXT) | instid1(VALU_DEP_1)
	v_cndmask_b32_e32 v13, 0, v13, vcc_lo
	v_mul_f64 v[9:10], v[13:14], v[9:10]
.LBB5_20:
	s_and_not1_saveexec_b32 s11, s0
	s_cbranch_execz .LBB5_22
; %bb.21:
	v_div_scale_f64 v[9:10], null, v[11:12], v[11:12], 0x40400000
	v_div_scale_f64 v[18:19], vcc_lo, 0x40400000, v[11:12], 0x40400000
	s_mov_b32 s12, 0x66119130
	s_mov_b32 s13, 0xbc5646da
	;; [unrolled: 1-line block ×4, first 2 shown]
	v_cmp_nlt_f64_e64 s0, 0x40900000, v[11:12]
	s_delay_alu instid0(VALU_DEP_3) | instskip(SKIP_2) | instid1(VALU_DEP_1)
	v_rcp_f64_e32 v[13:14], v[9:10]
	s_waitcnt_depctr 0xfff
	v_fma_f64 v[16:17], -v[9:10], v[13:14], 1.0
	v_fma_f64 v[13:14], v[13:14], v[16:17], v[13:14]
	s_delay_alu instid0(VALU_DEP_1) | instskip(NEXT) | instid1(VALU_DEP_1)
	v_fma_f64 v[16:17], -v[9:10], v[13:14], 1.0
	v_fma_f64 v[13:14], v[13:14], v[16:17], v[13:14]
	s_delay_alu instid0(VALU_DEP_1) | instskip(NEXT) | instid1(VALU_DEP_1)
	v_mul_f64 v[16:17], v[18:19], v[13:14]
	v_fma_f64 v[9:10], -v[9:10], v[16:17], v[18:19]
	s_delay_alu instid0(VALU_DEP_1) | instskip(SKIP_1) | instid1(VALU_DEP_2)
	v_div_fmas_f64 v[9:10], v[9:10], v[13:14], v[16:17]
	v_cmp_gt_f64_e32 vcc_lo, 0x10000000, v[11:12]
	v_div_fixup_f64 v[9:10], v[9:10], v[11:12], 0x40400000
	v_cndmask_b32_e64 v24, 0, 1, vcc_lo
	s_delay_alu instid0(VALU_DEP_1) | instskip(NEXT) | instid1(VALU_DEP_1)
	v_lshlrev_b32_e32 v24, 8, v24
	v_ldexp_f64 v[24:25], v[11:12], v24
	s_delay_alu instid0(VALU_DEP_4) | instskip(NEXT) | instid1(VALU_DEP_2)
	v_add_f64 v[9:10], v[9:10], -2.0
	v_rsq_f64_e32 v[26:27], v[24:25]
	s_delay_alu instid0(VALU_DEP_1)
	v_fma_f64 v[13:14], v[9:10], s[16:17], s[12:13]
	s_mov_b32 s17, 0x3c60adb7
	s_mov_b32 s12, 0x12d98421
	;; [unrolled: 1-line block ×3, first 2 shown]
	s_waitcnt_depctr 0xfff
	v_mul_f64 v[28:29], v[24:25], v[26:27]
	v_mul_f64 v[26:27], v[26:27], 0.5
	v_fma_f64 v[16:17], v[9:10], v[13:14], s[16:17]
	s_mov_b32 s16, 0x6a5dcb37
	s_mov_b32 s17, 0x3e5ade15
	s_delay_alu instid0(VALU_DEP_2) | instskip(NEXT) | instid1(VALU_DEP_2)
	v_fma_f64 v[30:31], -v[26:27], v[28:29], 0.5
	v_add_f64 v[16:17], v[16:17], s[12:13]
	s_mov_b32 s12, 0x76041cd
	s_mov_b32 s13, 0x3c83f3dd
	s_delay_alu instid0(VALU_DEP_2) | instskip(SKIP_1) | instid1(VALU_DEP_3)
	v_fma_f64 v[28:29], v[28:29], v[30:31], v[28:29]
	v_fma_f64 v[26:27], v[26:27], v[30:31], v[26:27]
	v_fma_f64 v[13:14], v[9:10], v[16:17], -v[13:14]
	s_delay_alu instid0(VALU_DEP_3) | instskip(NEXT) | instid1(VALU_DEP_2)
	v_fma_f64 v[30:31], -v[28:29], v[28:29], v[24:25]
	v_add_f64 v[13:14], v[13:14], s[12:13]
	s_mov_b32 s12, 0xabd21fe4
	s_mov_b32 s13, 0xbcb4600b
	s_delay_alu instid0(VALU_DEP_1) | instskip(NEXT) | instid1(VALU_DEP_1)
	v_fma_f64 v[16:17], v[9:10], v[13:14], -v[16:17]
	v_add_f64 v[16:17], v[16:17], s[12:13]
	s_mov_b32 s12, 0xd908de38
	s_mov_b32 s13, 0xbcb8aee7
	s_delay_alu instid0(VALU_DEP_1) | instskip(NEXT) | instid1(VALU_DEP_1)
	v_fma_f64 v[13:14], v[9:10], v[16:17], -v[13:14]
	;; [unrolled: 5-line block ×14, first 2 shown]
	v_add_f64 v[13:14], v[13:14], s[12:13]
	s_mov_b32 s12, 0x652b82fe
	s_mov_b32 s13, 0x3ff71547
	s_delay_alu instid0(SALU_CYCLE_1) | instskip(SKIP_2) | instid1(VALU_DEP_2)
	v_mul_f64 v[18:19], v[11:12], s[12:13]
	s_mov_b32 s12, 0xa9225b87
	s_mov_b32 s13, 0x3e2d2c64
	v_fma_f64 v[16:17], v[9:10], v[13:14], -v[16:17]
	s_delay_alu instid0(VALU_DEP_2) | instskip(NEXT) | instid1(VALU_DEP_2)
	v_rndne_f64_e32 v[18:19], v[18:19]
	v_add_f64 v[16:17], v[16:17], s[12:13]
	s_mov_b32 s12, 0xfefa39ef
	s_mov_b32 s13, 0xbfe62e42
	s_delay_alu instid0(VALU_DEP_2) | instid1(SALU_CYCLE_1)
	v_fma_f64 v[20:21], v[18:19], s[12:13], v[11:12]
	s_mov_b32 s12, 0x3b39803f
	s_mov_b32 s13, 0xbc7abc9e
	s_delay_alu instid0(VALU_DEP_2) | instskip(NEXT) | instid1(VALU_DEP_2)
	v_fma_f64 v[13:14], v[9:10], v[16:17], -v[13:14]
	v_fma_f64 v[20:21], v[18:19], s[12:13], v[20:21]
	s_mov_b32 s12, 0x80d6d56d
	s_mov_b32 s13, 0x3e585692
	s_delay_alu instid0(VALU_DEP_2) | instid1(SALU_CYCLE_1)
	v_add_f64 v[13:14], v[13:14], s[12:13]
	s_mov_b32 s12, 0xfca7ab0c
	s_mov_b32 s13, 0x3e928af3
	s_delay_alu instid0(VALU_DEP_2) | instid1(SALU_CYCLE_1)
	v_fma_f64 v[22:23], v[20:21], s[16:17], s[12:13]
	s_mov_b32 s12, 0x623fde64
	s_mov_b32 s13, 0x3ec71dee
	s_delay_alu instid0(VALU_DEP_2) | instskip(NEXT) | instid1(VALU_DEP_2)
	v_fma_f64 v[16:17], v[9:10], v[13:14], -v[16:17]
	v_fma_f64 v[22:23], v[20:21], v[22:23], s[12:13]
	s_mov_b32 s12, 0xd9cd616e
	s_mov_b32 s13, 0x3e8b8007
	s_delay_alu instid0(VALU_DEP_2) | instid1(SALU_CYCLE_1)
	;; [unrolled: 13-line block ×5, first 2 shown]
	v_add_f64 v[13:14], v[13:14], s[12:13]
	s_mov_b32 s12, 11
	s_mov_b32 s13, 0x3fe00000
	s_delay_alu instid0(VALU_DEP_2) | instid1(SALU_CYCLE_1)
	v_fma_f64 v[22:23], v[20:21], v[22:23], s[12:13]
	s_mov_b32 s12, 0xaca809cb
	s_mov_b32 s13, 0x3fe9be62
	s_delay_alu instid0(VALU_DEP_2) | instskip(SKIP_2) | instid1(VALU_DEP_4)
	v_fma_f64 v[9:10], v[9:10], v[13:14], -v[16:17]
	v_fma_f64 v[13:14], v[30:31], v[26:27], v[28:29]
	v_cvt_i32_f64_e32 v28, v[18:19]
	v_fma_f64 v[22:23], v[20:21], v[22:23], 1.0
	s_delay_alu instid0(VALU_DEP_4) | instskip(NEXT) | instid1(VALU_DEP_4)
	v_add_f64 v[9:10], v[9:10], s[12:13]
	v_fma_f64 v[18:19], -v[13:14], v[13:14], v[24:25]
	s_delay_alu instid0(VALU_DEP_3) | instskip(NEXT) | instid1(VALU_DEP_3)
	v_fma_f64 v[20:21], v[20:21], v[22:23], 1.0
	v_add_f64 v[9:10], v[9:10], -v[16:17]
	s_delay_alu instid0(VALU_DEP_3) | instskip(SKIP_4) | instid1(VALU_DEP_4)
	v_fma_f64 v[13:14], v[18:19], v[26:27], v[13:14]
	v_cndmask_b32_e64 v18, 0, 0xffffff80, vcc_lo
	v_cmp_class_f64_e64 vcc_lo, v[24:25], 0x260
	v_ldexp_f64 v[16:17], v[20:21], v28
	v_mul_f64 v[9:10], v[9:10], 0.5
	v_ldexp_f64 v[13:14], v[13:14], v18
	s_delay_alu instid0(VALU_DEP_3) | instskip(NEXT) | instid1(VALU_DEP_4)
	v_cndmask_b32_e64 v17, 0x7ff00000, v17, s0
	v_cndmask_b32_e64 v16, 0, v16, s0
	s_delay_alu instid0(VALU_DEP_1) | instskip(NEXT) | instid1(VALU_DEP_4)
	v_mul_f64 v[9:10], v[16:17], v[9:10]
	v_dual_cndmask_b32 v14, v14, v25 :: v_dual_cndmask_b32 v13, v13, v24
	s_delay_alu instid0(VALU_DEP_1) | instskip(NEXT) | instid1(VALU_DEP_1)
	v_div_scale_f64 v[16:17], null, v[13:14], v[13:14], v[9:10]
	v_rcp_f64_e32 v[18:19], v[16:17]
	s_waitcnt_depctr 0xfff
	v_fma_f64 v[20:21], -v[16:17], v[18:19], 1.0
	s_delay_alu instid0(VALU_DEP_1) | instskip(NEXT) | instid1(VALU_DEP_1)
	v_fma_f64 v[18:19], v[18:19], v[20:21], v[18:19]
	v_fma_f64 v[20:21], -v[16:17], v[18:19], 1.0
	s_delay_alu instid0(VALU_DEP_1) | instskip(SKIP_1) | instid1(VALU_DEP_1)
	v_fma_f64 v[18:19], v[18:19], v[20:21], v[18:19]
	v_div_scale_f64 v[20:21], vcc_lo, v[9:10], v[13:14], v[9:10]
	v_mul_f64 v[22:23], v[20:21], v[18:19]
	s_delay_alu instid0(VALU_DEP_1) | instskip(NEXT) | instid1(VALU_DEP_1)
	v_fma_f64 v[16:17], -v[16:17], v[22:23], v[20:21]
	v_div_fmas_f64 v[16:17], v[16:17], v[18:19], v[22:23]
	s_delay_alu instid0(VALU_DEP_1)
	v_div_fixup_f64 v[9:10], v[16:17], v[13:14], v[9:10]
.LBB5_22:
	s_or_b32 exec_lo, exec_lo, s11
	s_delay_alu instid0(VALU_DEP_2)
	v_frexp_mant_f64_e32 v[13:14], v[3:4]
	s_mov_b32 s13, 0x3fe55555
	s_mov_b32 s12, 0x55555555
	v_mov_b32_e32 v16, 0
	s_mov_b32 s16, 0x6b47b09a
	s_mov_b32 s18, 0xbf559e2b
	;; [unrolled: 1-line block ×4, first 2 shown]
	v_fma_f64 v[11:12], v[11:12], v[11:12], -2.0
	s_delay_alu instid0(VALU_DEP_3) | instskip(SKIP_2) | instid1(VALU_DEP_1)
	v_cmp_gt_f64_e32 vcc_lo, s[12:13], v[13:14]
	s_mov_b32 s12, 0x55555780
	v_cndmask_b32_e64 v17, 0x3ff00000, 2.0, vcc_lo
	v_mul_f64 v[13:14], v[13:14], v[16:17]
	s_delay_alu instid0(VALU_DEP_1) | instskip(SKIP_1) | instid1(VALU_DEP_2)
	v_add_f64 v[16:17], v[13:14], 1.0
	v_add_f64 v[22:23], v[13:14], -1.0
	v_rcp_f64_e32 v[18:19], v[16:17]
	v_add_f64 v[24:25], v[16:17], -1.0
	s_delay_alu instid0(VALU_DEP_1) | instskip(SKIP_2) | instid1(VALU_DEP_1)
	v_add_f64 v[13:14], v[13:14], -v[24:25]
	s_waitcnt_depctr 0xfff
	v_fma_f64 v[20:21], -v[16:17], v[18:19], 1.0
	v_fma_f64 v[18:19], v[20:21], v[18:19], v[18:19]
	s_delay_alu instid0(VALU_DEP_1) | instskip(NEXT) | instid1(VALU_DEP_1)
	v_fma_f64 v[20:21], -v[16:17], v[18:19], 1.0
	v_fma_f64 v[18:19], v[20:21], v[18:19], v[18:19]
	s_delay_alu instid0(VALU_DEP_1) | instskip(NEXT) | instid1(VALU_DEP_1)
	v_mul_f64 v[20:21], v[22:23], v[18:19]
	v_mul_f64 v[26:27], v[16:17], v[20:21]
	s_delay_alu instid0(VALU_DEP_1) | instskip(NEXT) | instid1(VALU_DEP_1)
	v_fma_f64 v[16:17], v[20:21], v[16:17], -v[26:27]
	v_fma_f64 v[13:14], v[20:21], v[13:14], v[16:17]
	s_delay_alu instid0(VALU_DEP_1) | instskip(NEXT) | instid1(VALU_DEP_1)
	v_add_f64 v[16:17], v[26:27], v[13:14]
	v_add_f64 v[24:25], v[22:23], -v[16:17]
	v_add_f64 v[26:27], v[16:17], -v[26:27]
	s_delay_alu instid0(VALU_DEP_2) | instskip(NEXT) | instid1(VALU_DEP_2)
	v_add_f64 v[22:23], v[22:23], -v[24:25]
	v_add_f64 v[13:14], v[26:27], -v[13:14]
	v_frexp_exp_i32_f64_e32 v26, v[3:4]
	s_delay_alu instid0(VALU_DEP_3) | instskip(NEXT) | instid1(VALU_DEP_1)
	v_add_f64 v[16:17], v[22:23], -v[16:17]
	v_add_f64 v[13:14], v[13:14], v[16:17]
	s_delay_alu instid0(VALU_DEP_1) | instskip(NEXT) | instid1(VALU_DEP_1)
	v_add_f64 v[13:14], v[24:25], v[13:14]
	v_mul_f64 v[13:14], v[18:19], v[13:14]
	s_delay_alu instid0(VALU_DEP_1) | instskip(NEXT) | instid1(VALU_DEP_1)
	v_add_f64 v[16:17], v[20:21], v[13:14]
	v_mul_f64 v[18:19], v[16:17], v[16:17]
	s_delay_alu instid0(VALU_DEP_1) | instskip(SKIP_3) | instid1(VALU_DEP_2)
	v_fma_f64 v[22:23], v[18:19], s[18:19], s[16:17]
	s_mov_b32 s16, 0xd7f4df2e
	s_mov_b32 s17, 0x3fc7474d
	v_mul_f64 v[24:25], v[16:17], v[18:19]
	v_fma_f64 v[22:23], v[18:19], v[22:23], s[16:17]
	s_mov_b32 s16, 0x16291751
	s_mov_b32 s17, 0x3fcc71c0
	s_delay_alu instid0(VALU_DEP_1) | instid1(SALU_CYCLE_1)
	v_fma_f64 v[22:23], v[18:19], v[22:23], s[16:17]
	s_mov_b32 s16, 0x9b27acf1
	s_mov_b32 s17, 0x3fd24924
	s_delay_alu instid0(VALU_DEP_1) | instid1(SALU_CYCLE_1)
	v_fma_f64 v[22:23], v[18:19], v[22:23], s[16:17]
	s_mov_b32 s16, 0x998ef7b6
	s_mov_b32 s17, 0x3fd99999
	s_delay_alu instid0(VALU_DEP_1) | instid1(SALU_CYCLE_1)
	v_fma_f64 v[22:23], v[18:19], v[22:23], s[16:17]
	s_mov_b32 s17, 0x3ca3cee1
	s_mov_b32 s16, 0xe6a7fd77
	s_delay_alu instid0(VALU_DEP_1) | instskip(SKIP_4) | instid1(VALU_DEP_3)
	v_fma_f64 v[18:19], v[18:19], v[22:23], s[12:13]
	v_ldexp_f64 v[22:23], v[16:17], 1
	v_add_f64 v[16:17], v[16:17], -v[20:21]
	s_mov_b32 s12, 0xc384c2aa
	s_mov_b32 s13, 0x3d27fb0a
	v_mul_f64 v[18:19], v[24:25], v[18:19]
	v_subrev_co_ci_u32_e32 v24, vcc_lo, 0, v26, vcc_lo
	v_fma_f64 v[26:27], v[11:12], s[16:17], s[12:13]
	s_mov_b32 s12, 0xfefa39ef
	s_mov_b32 s13, 0x3fe62e42
	s_delay_alu instid0(VALU_DEP_2) | instskip(SKIP_4) | instid1(VALU_DEP_4)
	v_cvt_f64_i32_e32 v[24:25], v24
	v_add_f64 v[13:14], v[13:14], -v[16:17]
	s_mov_b32 s17, 0xbca3cee1
	v_cmp_eq_f64_e32 vcc_lo, 0x7ff00000, v[3:4]
	v_add_f64 v[20:21], v[22:23], v[18:19]
	v_mul_f64 v[28:29], v[24:25], s[12:13]
	s_delay_alu instid0(VALU_DEP_4) | instskip(NEXT) | instid1(VALU_DEP_3)
	v_ldexp_f64 v[13:14], v[13:14], 1
	v_add_f64 v[16:17], v[20:21], -v[22:23]
	v_fma_f64 v[22:23], v[11:12], v[26:27], s[16:17]
	s_delay_alu instid0(VALU_DEP_4) | instskip(SKIP_2) | instid1(VALU_DEP_3)
	v_fma_f64 v[30:31], v[24:25], s[12:13], -v[28:29]
	s_mov_b32 s12, 0x47512144
	s_mov_b32 s13, 0x3da6c25c
	v_add_f64 v[16:17], v[18:19], -v[16:17]
	s_delay_alu instid0(VALU_DEP_3)
	v_add_f64 v[18:19], v[22:23], s[12:13]
	s_mov_b32 s12, 0x3b39803f
	s_mov_b32 s13, 0x3c7abc9e
	s_delay_alu instid0(VALU_DEP_3) | instid1(SALU_CYCLE_1)
	v_fma_f64 v[22:23], v[24:25], s[12:13], v[30:31]
	s_mov_b32 s12, 0x67e58a13
	s_mov_b32 s13, 0x3e205c13
	s_delay_alu instid0(VALU_DEP_3) | instskip(NEXT) | instid1(VALU_DEP_3)
	v_add_f64 v[13:14], v[13:14], v[16:17]
	v_fma_f64 v[16:17], v[11:12], v[18:19], -v[26:27]
	s_delay_alu instid0(VALU_DEP_3) | instskip(NEXT) | instid1(VALU_DEP_3)
	v_add_f64 v[24:25], v[28:29], v[22:23]
	v_add_f64 v[26:27], v[20:21], v[13:14]
	s_delay_alu instid0(VALU_DEP_3) | instskip(SKIP_2) | instid1(VALU_DEP_3)
	v_add_f64 v[16:17], v[16:17], s[12:13]
	s_mov_b32 s12, 0xe7f95efc
	s_mov_b32 s13, 0x3e9102bc
	v_add_f64 v[28:29], v[24:25], -v[28:29]
	s_delay_alu instid0(VALU_DEP_3) | instskip(NEXT) | instid1(VALU_DEP_3)
	v_add_f64 v[30:31], v[24:25], v[26:27]
	v_fma_f64 v[18:19], v[11:12], v[16:17], -v[18:19]
	v_add_f64 v[20:21], v[26:27], -v[20:21]
	s_delay_alu instid0(VALU_DEP_4) | instskip(NEXT) | instid1(VALU_DEP_4)
	v_add_f64 v[22:23], v[22:23], -v[28:29]
	v_add_f64 v[32:33], v[30:31], -v[24:25]
	s_delay_alu instid0(VALU_DEP_4) | instskip(NEXT) | instid1(VALU_DEP_4)
	v_add_f64 v[18:19], v[18:19], s[12:13]
	v_add_f64 v[13:14], v[13:14], -v[20:21]
	s_mov_b32 s12, 0xfe8cfca0
	s_mov_b32 s13, 0x3ef7f900
	s_delay_alu instid0(VALU_DEP_3) | instskip(NEXT) | instid1(VALU_DEP_3)
	v_add_f64 v[34:35], v[30:31], -v[32:33]
	v_fma_f64 v[16:17], v[11:12], v[18:19], -v[16:17]
	v_add_f64 v[20:21], v[26:27], -v[32:33]
	s_delay_alu instid0(VALU_DEP_4) | instskip(NEXT) | instid1(VALU_DEP_4)
	v_add_f64 v[26:27], v[22:23], v[13:14]
	v_add_f64 v[24:25], v[24:25], -v[34:35]
	s_delay_alu instid0(VALU_DEP_4) | instskip(SKIP_2) | instid1(VALU_DEP_2)
	v_add_f64 v[16:17], v[16:17], s[12:13]
	s_mov_b32 s12, 0x75633d73
	s_mov_b32 s13, 0x3f54b82e
	v_add_f64 v[20:21], v[20:21], v[24:25]
	s_delay_alu instid0(VALU_DEP_2) | instskip(SKIP_1) | instid1(VALU_DEP_3)
	v_fma_f64 v[18:19], v[11:12], v[16:17], -v[18:19]
	v_add_f64 v[24:25], v[26:27], -v[22:23]
	v_add_f64 v[20:21], v[26:27], v[20:21]
	s_delay_alu instid0(VALU_DEP_3) | instskip(NEXT) | instid1(VALU_DEP_3)
	v_add_f64 v[18:19], v[18:19], s[12:13]
	v_add_f64 v[26:27], v[26:27], -v[24:25]
	v_add_f64 v[13:14], v[13:14], -v[24:25]
	s_mov_b32 s12, 0x554a9085
	s_mov_b32 s13, 0x3fa26bf6
	s_delay_alu instid0(VALU_DEP_4) | instskip(NEXT) | instid1(VALU_DEP_4)
	v_add_f64 v[28:29], v[30:31], v[20:21]
	v_fma_f64 v[16:17], v[11:12], v[18:19], -v[16:17]
	s_delay_alu instid0(VALU_DEP_4) | instskip(NEXT) | instid1(VALU_DEP_3)
	v_add_f64 v[22:23], v[22:23], -v[26:27]
	v_add_f64 v[24:25], v[28:29], -v[30:31]
	s_delay_alu instid0(VALU_DEP_3) | instskip(NEXT) | instid1(VALU_DEP_3)
	v_add_f64 v[16:17], v[16:17], s[12:13]
	v_add_f64 v[13:14], v[13:14], v[22:23]
	s_mov_b32 s12, 0x81213db9
	s_mov_b32 s13, 0x3fd608d8
	s_delay_alu instid0(VALU_DEP_3) | instskip(NEXT) | instid1(VALU_DEP_3)
	v_add_f64 v[20:21], v[20:21], -v[24:25]
	v_fma_f64 v[18:19], v[11:12], v[16:17], -v[18:19]
	s_delay_alu instid0(VALU_DEP_2) | instskip(NEXT) | instid1(VALU_DEP_2)
	v_add_f64 v[13:14], v[13:14], v[20:21]
	v_add_f64 v[18:19], v[18:19], s[12:13]
	s_mov_b32 s12, 0xe9d2f61f
	s_mov_b32 s13, 0xbfe12166
	s_delay_alu instid0(VALU_DEP_2) | instskip(NEXT) | instid1(VALU_DEP_2)
	v_add_f64 v[13:14], v[28:29], v[13:14]
	v_fma_f64 v[11:12], v[11:12], v[18:19], -v[16:17]
	s_delay_alu instid0(VALU_DEP_2) | instskip(SKIP_1) | instid1(VALU_DEP_3)
	v_dual_cndmask_b32 v13, v13, v3 :: v_dual_cndmask_b32 v14, v14, v4
	v_cmp_neq_f64_e32 vcc_lo, 0, v[3:4]
	v_add_f64 v[3:4], v[11:12], s[12:13]
	s_delay_alu instid0(VALU_DEP_3) | instskip(NEXT) | instid1(VALU_DEP_4)
	v_cndmask_b32_e32 v11, 0, v13, vcc_lo
	v_cndmask_b32_e32 v12, 0xfff00000, v14, vcc_lo
	s_delay_alu instid0(VALU_DEP_3) | instskip(NEXT) | instid1(VALU_DEP_2)
	v_add_f64 v[3:4], v[3:4], -v[16:17]
	v_mul_f64 v[9:10], v[11:12], v[9:10]
                                        ; implicit-def: $vgpr11_vgpr12
	s_delay_alu instid0(VALU_DEP_1)
	v_fma_f64 v[3:4], v[3:4], 0.5, -v[9:10]
.LBB5_23:
	s_and_not1_saveexec_b32 s10, s10
	s_cbranch_execz .LBB5_25
; %bb.24:
	v_div_scale_f64 v[3:4], null, v[11:12], v[11:12], 0x40200000
	v_div_scale_f64 v[16:17], vcc_lo, 0x40200000, v[11:12], 0x40200000
	s_mov_b32 s12, 0x93812603
	s_mov_b32 s13, 0xbc72fecc
	;; [unrolled: 1-line block ×4, first 2 shown]
	v_cmp_nlt_f64_e64 s0, 0x4090cc00, v[11:12]
	s_delay_alu instid0(VALU_DEP_3) | instskip(SKIP_2) | instid1(VALU_DEP_1)
	v_rcp_f64_e32 v[9:10], v[3:4]
	s_waitcnt_depctr 0xfff
	v_fma_f64 v[13:14], -v[3:4], v[9:10], 1.0
	v_fma_f64 v[9:10], v[9:10], v[13:14], v[9:10]
	s_delay_alu instid0(VALU_DEP_1) | instskip(NEXT) | instid1(VALU_DEP_1)
	v_fma_f64 v[13:14], -v[3:4], v[9:10], 1.0
	v_fma_f64 v[9:10], v[9:10], v[13:14], v[9:10]
	s_delay_alu instid0(VALU_DEP_1) | instskip(NEXT) | instid1(VALU_DEP_1)
	v_mul_f64 v[13:14], v[16:17], v[9:10]
	v_fma_f64 v[3:4], -v[3:4], v[13:14], v[16:17]
	s_delay_alu instid0(VALU_DEP_1) | instskip(SKIP_1) | instid1(VALU_DEP_2)
	v_div_fmas_f64 v[3:4], v[3:4], v[9:10], v[13:14]
	v_cmp_gt_f64_e32 vcc_lo, 0x10000000, v[11:12]
	v_div_fixup_f64 v[3:4], v[3:4], v[11:12], 0x40200000
	v_cndmask_b32_e64 v22, 0, 1, vcc_lo
	s_delay_alu instid0(VALU_DEP_1) | instskip(NEXT) | instid1(VALU_DEP_1)
	v_lshlrev_b32_e32 v22, 8, v22
	v_ldexp_f64 v[22:23], v[11:12], v22
	s_delay_alu instid0(VALU_DEP_4) | instskip(NEXT) | instid1(VALU_DEP_2)
	v_add_f64 v[3:4], v[3:4], -2.0
	v_rsq_f64_e32 v[24:25], v[22:23]
	s_delay_alu instid0(VALU_DEP_1)
	v_fma_f64 v[9:10], v[3:4], s[16:17], s[12:13]
	s_mov_b32 s17, 0xbc5871a5
	s_mov_b32 s12, 0x41a8cdf4
	;; [unrolled: 1-line block ×3, first 2 shown]
	s_waitcnt_depctr 0xfff
	v_mul_f64 v[26:27], v[22:23], v[24:25]
	v_mul_f64 v[24:25], v[24:25], 0.5
	v_fma_f64 v[13:14], v[3:4], v[9:10], s[16:17]
	s_mov_b32 s16, 0x6a5dcb37
	s_mov_b32 s17, 0x3e5ade15
	s_delay_alu instid0(VALU_DEP_2) | instskip(NEXT) | instid1(VALU_DEP_2)
	v_fma_f64 v[28:29], -v[24:25], v[26:27], 0.5
	v_add_f64 v[13:14], v[13:14], s[12:13]
	s_mov_b32 s12, 0x74d77641
	s_mov_b32 s13, 0xbca82f94
	s_delay_alu instid0(VALU_DEP_2) | instskip(SKIP_1) | instid1(VALU_DEP_3)
	v_fma_f64 v[26:27], v[26:27], v[28:29], v[26:27]
	v_fma_f64 v[24:25], v[24:25], v[28:29], v[24:25]
	v_fma_f64 v[9:10], v[3:4], v[13:14], -v[9:10]
	s_delay_alu instid0(VALU_DEP_3) | instskip(NEXT) | instid1(VALU_DEP_2)
	v_fma_f64 v[28:29], -v[26:27], v[26:27], v[22:23]
	v_add_f64 v[9:10], v[9:10], s[12:13]
	s_mov_b32 s12, 0x6b94785b
	s_mov_b32 s13, 0x3cc3dbf9
	s_delay_alu instid0(VALU_DEP_1) | instskip(NEXT) | instid1(VALU_DEP_1)
	v_fma_f64 v[13:14], v[3:4], v[9:10], -v[13:14]
	v_add_f64 v[13:14], v[13:14], s[12:13]
	s_mov_b32 s12, 0xecfadd36
	s_mov_b32 s13, 0xbce0a690
	s_delay_alu instid0(VALU_DEP_1) | instskip(NEXT) | instid1(VALU_DEP_1)
	v_fma_f64 v[9:10], v[3:4], v[13:14], -v[9:10]
	;; [unrolled: 5-line block ×14, first 2 shown]
	v_add_f64 v[9:10], v[9:10], s[12:13]
	s_mov_b32 s12, 0x652b82fe
	s_mov_b32 s13, 0xbff71547
	s_delay_alu instid0(SALU_CYCLE_1) | instskip(SKIP_2) | instid1(VALU_DEP_2)
	v_mul_f64 v[16:17], v[11:12], s[12:13]
	s_mov_b32 s12, 0x81e3e46f
	s_mov_b32 s13, 0x3e929159
	v_fma_f64 v[13:14], v[3:4], v[9:10], -v[13:14]
	s_delay_alu instid0(VALU_DEP_2) | instskip(NEXT) | instid1(VALU_DEP_2)
	v_rndne_f64_e32 v[16:17], v[16:17]
	v_add_f64 v[13:14], v[13:14], s[12:13]
	s_mov_b32 s12, 0xfefa39ef
	s_mov_b32 s13, 0xbfe62e42
	s_delay_alu instid0(VALU_DEP_2) | instid1(SALU_CYCLE_1)
	v_fma_f64 v[18:19], v[16:17], s[12:13], -v[11:12]
	s_mov_b32 s12, 0x3b39803f
	s_mov_b32 s13, 0xbc7abc9e
	v_cndmask_b32_e64 v11, 0, 0xffffff80, vcc_lo
	v_cmp_class_f64_e64 vcc_lo, v[22:23], 0x260
	s_delay_alu instid0(VALU_DEP_4) | instskip(NEXT) | instid1(VALU_DEP_4)
	v_fma_f64 v[9:10], v[3:4], v[13:14], -v[9:10]
	v_fma_f64 v[18:19], v[16:17], s[12:13], v[18:19]
	s_mov_b32 s12, 0x7f18d3a9
	s_mov_b32 s13, 0xbebebb54
	s_delay_alu instid0(VALU_DEP_2) | instid1(SALU_CYCLE_1)
	v_add_f64 v[9:10], v[9:10], s[12:13]
	s_mov_b32 s12, 0xfca7ab0c
	s_mov_b32 s13, 0x3e928af3
	s_delay_alu instid0(VALU_DEP_2) | instid1(SALU_CYCLE_1)
	v_fma_f64 v[20:21], v[18:19], s[16:17], s[12:13]
	s_mov_b32 s12, 0x623fde64
	s_mov_b32 s13, 0x3ec71dee
	s_delay_alu instid0(VALU_DEP_2) | instskip(NEXT) | instid1(VALU_DEP_2)
	v_fma_f64 v[13:14], v[3:4], v[9:10], -v[13:14]
	v_fma_f64 v[20:21], v[18:19], v[20:21], s[12:13]
	s_mov_b32 s12, 0xcc7470a9
	s_mov_b32 s13, 0x3eed413f
	s_delay_alu instid0(VALU_DEP_2) | instid1(SALU_CYCLE_1)
	v_add_f64 v[13:14], v[13:14], s[12:13]
	s_mov_b32 s12, 0x7c89e6b0
	s_mov_b32 s13, 0x3efa0199
	s_delay_alu instid0(VALU_DEP_2) | instid1(SALU_CYCLE_1)
	v_fma_f64 v[20:21], v[18:19], v[20:21], s[12:13]
	s_mov_b32 s12, 0x14761f6e
	s_mov_b32 s13, 0x3f2a01a0
	s_delay_alu instid0(VALU_DEP_2) | instskip(NEXT) | instid1(VALU_DEP_2)
	;; [unrolled: 13-line block ×4, first 2 shown]
	v_fma_f64 v[9:10], v[3:4], v[13:14], -v[9:10]
	v_fma_f64 v[20:21], v[18:19], v[20:21], s[12:13]
	s_mov_b32 s12, 0x2d4ff71e
	s_mov_b32 s13, 0xbfa019f7
	s_delay_alu instid0(VALU_DEP_2) | instid1(SALU_CYCLE_1)
	v_add_f64 v[9:10], v[9:10], s[12:13]
	s_mov_b32 s12, 11
	s_mov_b32 s13, 0x3fe00000
	s_delay_alu instid0(VALU_DEP_2) | instid1(SALU_CYCLE_1)
	v_fma_f64 v[20:21], v[18:19], v[20:21], s[12:13]
	s_mov_b32 s12, 0x9f4e6907
	s_mov_b32 s13, 0x400385bd
	s_delay_alu instid0(VALU_DEP_2) | instskip(SKIP_2) | instid1(VALU_DEP_4)
	v_fma_f64 v[3:4], v[3:4], v[9:10], -v[13:14]
	v_fma_f64 v[9:10], v[28:29], v[24:25], v[26:27]
	v_cvt_i32_f64_e32 v26, v[16:17]
	v_fma_f64 v[20:21], v[18:19], v[20:21], 1.0
	s_delay_alu instid0(VALU_DEP_4) | instskip(NEXT) | instid1(VALU_DEP_4)
	v_add_f64 v[3:4], v[3:4], s[12:13]
	v_fma_f64 v[16:17], -v[9:10], v[9:10], v[22:23]
	s_delay_alu instid0(VALU_DEP_3) | instskip(NEXT) | instid1(VALU_DEP_3)
	v_fma_f64 v[18:19], v[18:19], v[20:21], 1.0
	v_add_f64 v[3:4], v[3:4], -v[13:14]
	s_delay_alu instid0(VALU_DEP_3) | instskip(NEXT) | instid1(VALU_DEP_3)
	v_fma_f64 v[9:10], v[16:17], v[24:25], v[9:10]
	v_ldexp_f64 v[13:14], v[18:19], v26
	s_delay_alu instid0(VALU_DEP_3) | instskip(NEXT) | instid1(VALU_DEP_3)
	v_mul_f64 v[3:4], v[3:4], 0.5
	v_ldexp_f64 v[9:10], v[9:10], v11
	s_delay_alu instid0(VALU_DEP_3) | instskip(NEXT) | instid1(VALU_DEP_4)
	v_cndmask_b32_e64 v12, 0, v14, s0
	v_cndmask_b32_e64 v11, 0, v13, s0
	s_delay_alu instid0(VALU_DEP_1) | instskip(NEXT) | instid1(VALU_DEP_4)
	v_mul_f64 v[3:4], v[11:12], v[3:4]
	v_dual_cndmask_b32 v10, v10, v23 :: v_dual_cndmask_b32 v9, v9, v22
	s_delay_alu instid0(VALU_DEP_1) | instskip(NEXT) | instid1(VALU_DEP_1)
	v_div_scale_f64 v[11:12], null, v[9:10], v[9:10], v[3:4]
	v_rcp_f64_e32 v[13:14], v[11:12]
	s_waitcnt_depctr 0xfff
	v_fma_f64 v[16:17], -v[11:12], v[13:14], 1.0
	s_delay_alu instid0(VALU_DEP_1) | instskip(NEXT) | instid1(VALU_DEP_1)
	v_fma_f64 v[13:14], v[13:14], v[16:17], v[13:14]
	v_fma_f64 v[16:17], -v[11:12], v[13:14], 1.0
	s_delay_alu instid0(VALU_DEP_1) | instskip(SKIP_1) | instid1(VALU_DEP_1)
	v_fma_f64 v[13:14], v[13:14], v[16:17], v[13:14]
	v_div_scale_f64 v[16:17], vcc_lo, v[3:4], v[9:10], v[3:4]
	v_mul_f64 v[18:19], v[16:17], v[13:14]
	s_delay_alu instid0(VALU_DEP_1) | instskip(NEXT) | instid1(VALU_DEP_1)
	v_fma_f64 v[11:12], -v[11:12], v[18:19], v[16:17]
	v_div_fmas_f64 v[11:12], v[11:12], v[13:14], v[18:19]
	s_delay_alu instid0(VALU_DEP_1)
	v_div_fixup_f64 v[3:4], v[11:12], v[9:10], v[3:4]
.LBB5_25:
	s_or_b32 exec_lo, exec_lo, s10
.LBB5_26:
	s_delay_alu instid0(SALU_CYCLE_1)
	s_or_b32 exec_lo, exec_lo, s9
.LBB5_27:
	s_delay_alu instid0(SALU_CYCLE_1) | instskip(SKIP_2) | instid1(VALU_DEP_2)
	s_or_b32 exec_lo, exec_lo, s1
	v_mov_b32_e32 v11, 0
	v_mov_b32_e32 v12, 0x7ff00000
	;; [unrolled: 1-line block ×3, first 2 shown]
	s_mov_b32 s1, exec_lo
	s_delay_alu instid0(VALU_DEP_2)
	v_mov_b32_e32 v10, v12
	s_waitcnt vmcnt(0)
	v_cmpx_neq_f64_e32 0, v[5:6]
	s_cbranch_execz .LBB5_39
; %bb.28:
	v_mov_b32_e32 v9, 0
	v_mov_b32_e32 v10, 0x7ff80000
	s_mov_b32 s9, exec_lo
	v_cmpx_ngt_f64_e32 0, v[5:6]
	s_cbranch_execz .LBB5_38
; %bb.29:
	s_mov_b32 s0, exec_lo
	v_cmpx_ge_f64_e32 2.0, v[5:6]
	s_xor_b32 s10, exec_lo, s0
	s_cbranch_execz .LBB5_35
; %bb.30:
	v_mul_f64 v[9:10], v[5:6], 0.5
	s_mov_b32 s0, exec_lo
                                        ; implicit-def: $vgpr13_vgpr14
	v_cmpx_ge_f64_e32 0x40200000, v[5:6]
	s_xor_b32 s0, exec_lo, s0
	s_cbranch_execz .LBB5_32
; %bb.31:
	s_delay_alu instid0(VALU_DEP_2)
	v_add_f64 v[13:14], v[9:10], -2.0
	s_mov_b32 s12, 0x977da589
	s_mov_b32 s13, 0x3c833362
	;; [unrolled: 1-line block ×4, first 2 shown]
	v_cmp_nlt_f64_e32 vcc_lo, 0x40900000, v[5:6]
	s_delay_alu instid0(VALU_DEP_2) | instskip(SKIP_3) | instid1(VALU_DEP_1)
	v_fma_f64 v[16:17], v[13:14], s[16:17], s[12:13]
	s_mov_b32 s17, 0x3c545cb7
	s_mov_b32 s12, 0x721ebbb4
	;; [unrolled: 1-line block ×3, first 2 shown]
	v_fma_f64 v[18:19], v[13:14], v[16:17], s[16:17]
	s_mov_b32 s16, 0x6a5dcb37
	s_mov_b32 s17, 0x3e5ade15
	s_delay_alu instid0(VALU_DEP_1) | instskip(SKIP_2) | instid1(VALU_DEP_1)
	v_add_f64 v[18:19], v[18:19], s[12:13]
	s_mov_b32 s12, 0x93f65eba
	s_mov_b32 s13, 0x3cdee6d8
	v_fma_f64 v[16:17], v[13:14], v[18:19], -v[16:17]
	s_delay_alu instid0(VALU_DEP_1) | instskip(SKIP_2) | instid1(VALU_DEP_1)
	v_add_f64 v[16:17], v[16:17], s[12:13]
	s_mov_b32 s12, 0xc297fbeb
	s_mov_b32 s13, 0xbd0a5022
	v_fma_f64 v[18:19], v[13:14], v[16:17], -v[18:19]
	;; [unrolled: 5-line block ×20, first 2 shown]
	s_delay_alu instid0(VALU_DEP_1) | instskip(SKIP_2) | instid1(SALU_CYCLE_1)
	v_add_f64 v[18:19], v[18:19], s[12:13]
	s_mov_b32 s12, 0x652b82fe
	s_mov_b32 s13, 0x3ff71547
	v_mul_f64 v[20:21], v[5:6], s[12:13]
	s_mov_b32 s12, 0xf3dde3dd
	s_mov_b32 s13, 0x3f859961
	s_delay_alu instid0(VALU_DEP_2) | instskip(NEXT) | instid1(VALU_DEP_2)
	v_fma_f64 v[16:17], v[13:14], v[18:19], -v[16:17]
	v_rndne_f64_e32 v[20:21], v[20:21]
	s_delay_alu instid0(VALU_DEP_2)
	v_add_f64 v[16:17], v[16:17], s[12:13]
	s_mov_b32 s12, 0xfefa39ef
	s_mov_b32 s13, 0xbfe62e42
	s_delay_alu instid0(VALU_DEP_2) | instid1(SALU_CYCLE_1)
	v_fma_f64 v[22:23], v[20:21], s[12:13], v[5:6]
	s_mov_b32 s12, 0x3b39803f
	s_mov_b32 s13, 0xbc7abc9e
	s_delay_alu instid0(VALU_DEP_2) | instskip(NEXT) | instid1(VALU_DEP_2)
	v_fma_f64 v[18:19], v[13:14], v[16:17], -v[18:19]
	v_fma_f64 v[22:23], v[20:21], s[12:13], v[22:23]
	s_mov_b32 s12, 0xf121b6f0
	s_mov_b32 s13, 0xbf984e9e
	v_cvt_i32_f64_e32 v20, v[20:21]
	s_delay_alu instid0(VALU_DEP_3)
	v_add_f64 v[18:19], v[18:19], s[12:13]
	s_mov_b32 s12, 0xfca7ab0c
	s_mov_b32 s13, 0x3e928af3
	s_delay_alu instid0(VALU_DEP_3) | instid1(SALU_CYCLE_1)
	v_fma_f64 v[24:25], v[22:23], s[16:17], s[12:13]
	s_mov_b32 s12, 0x623fde64
	s_mov_b32 s13, 0x3ec71dee
	s_delay_alu instid0(VALU_DEP_2) | instskip(NEXT) | instid1(VALU_DEP_2)
	v_fma_f64 v[16:17], v[13:14], v[18:19], -v[16:17]
	v_fma_f64 v[24:25], v[22:23], v[24:25], s[12:13]
	s_mov_b32 s12, 0xcea8a32d
	s_mov_b32 s13, 0x3fa93e8a
	s_delay_alu instid0(VALU_DEP_2) | instid1(SALU_CYCLE_1)
	v_add_f64 v[16:17], v[16:17], s[12:13]
	s_mov_b32 s12, 0x7c89e6b0
	s_mov_b32 s13, 0x3efa0199
	s_delay_alu instid0(VALU_DEP_2) | instid1(SALU_CYCLE_1)
	v_fma_f64 v[24:25], v[22:23], v[24:25], s[12:13]
	s_mov_b32 s12, 0x14761f6e
	s_mov_b32 s13, 0x3f2a01a0
	s_delay_alu instid0(VALU_DEP_2) | instskip(NEXT) | instid1(VALU_DEP_2)
	v_fma_f64 v[18:19], v[13:14], v[16:17], -v[18:19]
	v_fma_f64 v[24:25], v[22:23], v[24:25], s[12:13]
	s_mov_b32 s12, 0x342d06ea
	s_mov_b32 s13, 0xbfb84b70
	s_delay_alu instid0(VALU_DEP_2) | instid1(SALU_CYCLE_1)
	v_add_f64 v[18:19], v[18:19], s[12:13]
	s_mov_b32 s12, 0x1852b7b0
	s_mov_b32 s13, 0x3f56c16c
	s_delay_alu instid0(VALU_DEP_2) | instid1(SALU_CYCLE_1)
	;; [unrolled: 13-line block ×4, first 2 shown]
	v_fma_f64 v[24:25], v[22:23], v[24:25], s[12:13]
	s_mov_b32 s12, 0x9035a22a
	s_mov_b32 s13, 0x3fe5a84e
	s_delay_alu instid0(VALU_DEP_2) | instskip(NEXT) | instid1(VALU_DEP_2)
	v_fma_f64 v[13:14], v[13:14], v[18:19], -v[16:17]
	v_fma_f64 v[18:19], v[22:23], v[24:25], 1.0
	s_delay_alu instid0(VALU_DEP_2) | instskip(NEXT) | instid1(VALU_DEP_2)
	v_add_f64 v[13:14], v[13:14], s[12:13]
	v_fma_f64 v[18:19], v[22:23], v[18:19], 1.0
	s_delay_alu instid0(VALU_DEP_2) | instskip(NEXT) | instid1(VALU_DEP_2)
	v_add_f64 v[13:14], v[13:14], -v[16:17]
	v_ldexp_f64 v[16:17], v[18:19], v20
	s_delay_alu instid0(VALU_DEP_2) | instskip(NEXT) | instid1(VALU_DEP_2)
	v_mul_f64 v[13:14], v[13:14], 0.5
	v_cndmask_b32_e32 v17, 0x7ff00000, v17, vcc_lo
	s_delay_alu instid0(VALU_DEP_3) | instskip(NEXT) | instid1(VALU_DEP_1)
	v_cndmask_b32_e32 v16, 0, v16, vcc_lo
	v_mul_f64 v[13:14], v[16:17], v[13:14]
.LBB5_32:
	s_and_not1_saveexec_b32 s11, s0
	s_cbranch_execz .LBB5_34
; %bb.33:
	v_div_scale_f64 v[13:14], null, v[5:6], v[5:6], 0x40400000
	v_div_scale_f64 v[20:21], vcc_lo, 0x40400000, v[5:6], 0x40400000
	s_mov_b32 s12, 0x66119130
	s_mov_b32 s13, 0xbc5646da
	;; [unrolled: 1-line block ×4, first 2 shown]
	v_cmp_nlt_f64_e64 s0, 0x40900000, v[5:6]
	s_delay_alu instid0(VALU_DEP_3) | instskip(SKIP_2) | instid1(VALU_DEP_1)
	v_rcp_f64_e32 v[16:17], v[13:14]
	s_waitcnt_depctr 0xfff
	v_fma_f64 v[18:19], -v[13:14], v[16:17], 1.0
	v_fma_f64 v[16:17], v[16:17], v[18:19], v[16:17]
	s_delay_alu instid0(VALU_DEP_1) | instskip(NEXT) | instid1(VALU_DEP_1)
	v_fma_f64 v[18:19], -v[13:14], v[16:17], 1.0
	v_fma_f64 v[16:17], v[16:17], v[18:19], v[16:17]
	s_delay_alu instid0(VALU_DEP_1) | instskip(NEXT) | instid1(VALU_DEP_1)
	v_mul_f64 v[18:19], v[20:21], v[16:17]
	v_fma_f64 v[13:14], -v[13:14], v[18:19], v[20:21]
	s_delay_alu instid0(VALU_DEP_1) | instskip(SKIP_1) | instid1(VALU_DEP_2)
	v_div_fmas_f64 v[13:14], v[13:14], v[16:17], v[18:19]
	v_cmp_gt_f64_e32 vcc_lo, 0x10000000, v[5:6]
	v_div_fixup_f64 v[13:14], v[13:14], v[5:6], 0x40400000
	v_cndmask_b32_e64 v26, 0, 1, vcc_lo
	s_delay_alu instid0(VALU_DEP_1) | instskip(NEXT) | instid1(VALU_DEP_1)
	v_lshlrev_b32_e32 v26, 8, v26
	v_ldexp_f64 v[26:27], v[5:6], v26
	s_delay_alu instid0(VALU_DEP_4) | instskip(NEXT) | instid1(VALU_DEP_2)
	v_add_f64 v[13:14], v[13:14], -2.0
	v_rsq_f64_e32 v[28:29], v[26:27]
	s_delay_alu instid0(VALU_DEP_1)
	v_fma_f64 v[16:17], v[13:14], s[16:17], s[12:13]
	s_mov_b32 s17, 0x3c60adb7
	s_mov_b32 s12, 0x12d98421
	;; [unrolled: 1-line block ×3, first 2 shown]
	s_waitcnt_depctr 0xfff
	v_mul_f64 v[30:31], v[26:27], v[28:29]
	v_mul_f64 v[28:29], v[28:29], 0.5
	v_fma_f64 v[18:19], v[13:14], v[16:17], s[16:17]
	s_mov_b32 s16, 0x6a5dcb37
	s_mov_b32 s17, 0x3e5ade15
	s_delay_alu instid0(VALU_DEP_2) | instskip(NEXT) | instid1(VALU_DEP_2)
	v_fma_f64 v[32:33], -v[28:29], v[30:31], 0.5
	v_add_f64 v[18:19], v[18:19], s[12:13]
	s_mov_b32 s12, 0x76041cd
	s_mov_b32 s13, 0x3c83f3dd
	s_delay_alu instid0(VALU_DEP_2) | instskip(SKIP_1) | instid1(VALU_DEP_3)
	v_fma_f64 v[30:31], v[30:31], v[32:33], v[30:31]
	v_fma_f64 v[28:29], v[28:29], v[32:33], v[28:29]
	v_fma_f64 v[16:17], v[13:14], v[18:19], -v[16:17]
	s_delay_alu instid0(VALU_DEP_3) | instskip(NEXT) | instid1(VALU_DEP_2)
	v_fma_f64 v[32:33], -v[30:31], v[30:31], v[26:27]
	v_add_f64 v[16:17], v[16:17], s[12:13]
	s_mov_b32 s12, 0xabd21fe4
	s_mov_b32 s13, 0xbcb4600b
	s_delay_alu instid0(VALU_DEP_1) | instskip(NEXT) | instid1(VALU_DEP_1)
	v_fma_f64 v[18:19], v[13:14], v[16:17], -v[18:19]
	v_add_f64 v[18:19], v[18:19], s[12:13]
	s_mov_b32 s12, 0xd908de38
	s_mov_b32 s13, 0xbcb8aee7
	s_delay_alu instid0(VALU_DEP_1) | instskip(NEXT) | instid1(VALU_DEP_1)
	v_fma_f64 v[16:17], v[13:14], v[18:19], -v[16:17]
	;; [unrolled: 5-line block ×14, first 2 shown]
	v_add_f64 v[16:17], v[16:17], s[12:13]
	s_mov_b32 s12, 0x652b82fe
	s_mov_b32 s13, 0x3ff71547
	s_delay_alu instid0(SALU_CYCLE_1) | instskip(SKIP_2) | instid1(VALU_DEP_2)
	v_mul_f64 v[20:21], v[5:6], s[12:13]
	s_mov_b32 s12, 0xa9225b87
	s_mov_b32 s13, 0x3e2d2c64
	v_fma_f64 v[18:19], v[13:14], v[16:17], -v[18:19]
	s_delay_alu instid0(VALU_DEP_2) | instskip(NEXT) | instid1(VALU_DEP_2)
	v_rndne_f64_e32 v[20:21], v[20:21]
	v_add_f64 v[18:19], v[18:19], s[12:13]
	s_mov_b32 s12, 0xfefa39ef
	s_mov_b32 s13, 0xbfe62e42
	s_delay_alu instid0(VALU_DEP_2) | instid1(SALU_CYCLE_1)
	v_fma_f64 v[22:23], v[20:21], s[12:13], v[5:6]
	s_mov_b32 s12, 0x3b39803f
	s_mov_b32 s13, 0xbc7abc9e
	s_delay_alu instid0(VALU_DEP_2) | instskip(NEXT) | instid1(VALU_DEP_2)
	v_fma_f64 v[16:17], v[13:14], v[18:19], -v[16:17]
	v_fma_f64 v[22:23], v[20:21], s[12:13], v[22:23]
	s_mov_b32 s12, 0x80d6d56d
	s_mov_b32 s13, 0x3e585692
	s_delay_alu instid0(VALU_DEP_2) | instid1(SALU_CYCLE_1)
	v_add_f64 v[16:17], v[16:17], s[12:13]
	s_mov_b32 s12, 0xfca7ab0c
	s_mov_b32 s13, 0x3e928af3
	s_delay_alu instid0(VALU_DEP_2) | instid1(SALU_CYCLE_1)
	v_fma_f64 v[24:25], v[22:23], s[16:17], s[12:13]
	s_mov_b32 s12, 0x623fde64
	s_mov_b32 s13, 0x3ec71dee
	s_delay_alu instid0(VALU_DEP_2) | instskip(NEXT) | instid1(VALU_DEP_2)
	v_fma_f64 v[18:19], v[13:14], v[16:17], -v[18:19]
	v_fma_f64 v[24:25], v[22:23], v[24:25], s[12:13]
	s_mov_b32 s12, 0xd9cd616e
	s_mov_b32 s13, 0x3e8b8007
	s_delay_alu instid0(VALU_DEP_2) | instid1(SALU_CYCLE_1)
	;; [unrolled: 13-line block ×5, first 2 shown]
	v_add_f64 v[16:17], v[16:17], s[12:13]
	s_mov_b32 s12, 11
	s_mov_b32 s13, 0x3fe00000
	s_delay_alu instid0(VALU_DEP_2) | instid1(SALU_CYCLE_1)
	v_fma_f64 v[24:25], v[22:23], v[24:25], s[12:13]
	s_mov_b32 s12, 0xaca809cb
	s_mov_b32 s13, 0x3fe9be62
	s_delay_alu instid0(VALU_DEP_2) | instskip(SKIP_2) | instid1(VALU_DEP_4)
	v_fma_f64 v[13:14], v[13:14], v[16:17], -v[18:19]
	v_fma_f64 v[16:17], v[32:33], v[28:29], v[30:31]
	v_cvt_i32_f64_e32 v30, v[20:21]
	v_fma_f64 v[24:25], v[22:23], v[24:25], 1.0
	s_delay_alu instid0(VALU_DEP_4) | instskip(NEXT) | instid1(VALU_DEP_4)
	v_add_f64 v[13:14], v[13:14], s[12:13]
	v_fma_f64 v[20:21], -v[16:17], v[16:17], v[26:27]
	s_delay_alu instid0(VALU_DEP_3) | instskip(NEXT) | instid1(VALU_DEP_3)
	v_fma_f64 v[22:23], v[22:23], v[24:25], 1.0
	v_add_f64 v[13:14], v[13:14], -v[18:19]
	s_delay_alu instid0(VALU_DEP_3) | instskip(SKIP_4) | instid1(VALU_DEP_4)
	v_fma_f64 v[16:17], v[20:21], v[28:29], v[16:17]
	v_cndmask_b32_e64 v20, 0, 0xffffff80, vcc_lo
	v_cmp_class_f64_e64 vcc_lo, v[26:27], 0x260
	v_ldexp_f64 v[18:19], v[22:23], v30
	v_mul_f64 v[13:14], v[13:14], 0.5
	v_ldexp_f64 v[16:17], v[16:17], v20
	s_delay_alu instid0(VALU_DEP_3) | instskip(NEXT) | instid1(VALU_DEP_4)
	v_cndmask_b32_e64 v19, 0x7ff00000, v19, s0
	v_cndmask_b32_e64 v18, 0, v18, s0
	s_delay_alu instid0(VALU_DEP_1) | instskip(NEXT) | instid1(VALU_DEP_4)
	v_mul_f64 v[13:14], v[18:19], v[13:14]
	v_dual_cndmask_b32 v17, v17, v27 :: v_dual_cndmask_b32 v16, v16, v26
	s_delay_alu instid0(VALU_DEP_1) | instskip(NEXT) | instid1(VALU_DEP_1)
	v_div_scale_f64 v[18:19], null, v[16:17], v[16:17], v[13:14]
	v_rcp_f64_e32 v[20:21], v[18:19]
	s_waitcnt_depctr 0xfff
	v_fma_f64 v[22:23], -v[18:19], v[20:21], 1.0
	s_delay_alu instid0(VALU_DEP_1) | instskip(NEXT) | instid1(VALU_DEP_1)
	v_fma_f64 v[20:21], v[20:21], v[22:23], v[20:21]
	v_fma_f64 v[22:23], -v[18:19], v[20:21], 1.0
	s_delay_alu instid0(VALU_DEP_1) | instskip(SKIP_1) | instid1(VALU_DEP_1)
	v_fma_f64 v[20:21], v[20:21], v[22:23], v[20:21]
	v_div_scale_f64 v[22:23], vcc_lo, v[13:14], v[16:17], v[13:14]
	v_mul_f64 v[24:25], v[22:23], v[20:21]
	s_delay_alu instid0(VALU_DEP_1) | instskip(NEXT) | instid1(VALU_DEP_1)
	v_fma_f64 v[18:19], -v[18:19], v[24:25], v[22:23]
	v_div_fmas_f64 v[18:19], v[18:19], v[20:21], v[24:25]
	s_delay_alu instid0(VALU_DEP_1)
	v_div_fixup_f64 v[13:14], v[18:19], v[16:17], v[13:14]
.LBB5_34:
	s_or_b32 exec_lo, exec_lo, s11
	s_delay_alu instid0(VALU_DEP_2)
	v_frexp_mant_f64_e32 v[16:17], v[9:10]
	s_mov_b32 s13, 0x3fe55555
	s_mov_b32 s12, 0x55555555
	v_mov_b32_e32 v18, 0
	s_mov_b32 s16, 0x6b47b09a
	s_mov_b32 s18, 0xbf559e2b
	;; [unrolled: 1-line block ×4, first 2 shown]
	v_fma_f64 v[5:6], v[5:6], v[5:6], -2.0
	s_delay_alu instid0(VALU_DEP_3) | instskip(SKIP_2) | instid1(VALU_DEP_1)
	v_cmp_gt_f64_e32 vcc_lo, s[12:13], v[16:17]
	s_mov_b32 s12, 0x55555780
	v_cndmask_b32_e64 v19, 0x3ff00000, 2.0, vcc_lo
	v_mul_f64 v[16:17], v[16:17], v[18:19]
	s_delay_alu instid0(VALU_DEP_1) | instskip(SKIP_1) | instid1(VALU_DEP_2)
	v_add_f64 v[18:19], v[16:17], 1.0
	v_add_f64 v[24:25], v[16:17], -1.0
	v_rcp_f64_e32 v[20:21], v[18:19]
	v_add_f64 v[26:27], v[18:19], -1.0
	s_delay_alu instid0(VALU_DEP_1) | instskip(SKIP_2) | instid1(VALU_DEP_1)
	v_add_f64 v[16:17], v[16:17], -v[26:27]
	s_waitcnt_depctr 0xfff
	v_fma_f64 v[22:23], -v[18:19], v[20:21], 1.0
	v_fma_f64 v[20:21], v[22:23], v[20:21], v[20:21]
	s_delay_alu instid0(VALU_DEP_1) | instskip(NEXT) | instid1(VALU_DEP_1)
	v_fma_f64 v[22:23], -v[18:19], v[20:21], 1.0
	v_fma_f64 v[20:21], v[22:23], v[20:21], v[20:21]
	s_delay_alu instid0(VALU_DEP_1) | instskip(NEXT) | instid1(VALU_DEP_1)
	v_mul_f64 v[22:23], v[24:25], v[20:21]
	v_mul_f64 v[28:29], v[18:19], v[22:23]
	s_delay_alu instid0(VALU_DEP_1) | instskip(NEXT) | instid1(VALU_DEP_1)
	v_fma_f64 v[18:19], v[22:23], v[18:19], -v[28:29]
	v_fma_f64 v[16:17], v[22:23], v[16:17], v[18:19]
	s_delay_alu instid0(VALU_DEP_1) | instskip(NEXT) | instid1(VALU_DEP_1)
	v_add_f64 v[18:19], v[28:29], v[16:17]
	v_add_f64 v[26:27], v[24:25], -v[18:19]
	v_add_f64 v[28:29], v[18:19], -v[28:29]
	s_delay_alu instid0(VALU_DEP_2) | instskip(NEXT) | instid1(VALU_DEP_2)
	v_add_f64 v[24:25], v[24:25], -v[26:27]
	v_add_f64 v[16:17], v[28:29], -v[16:17]
	v_frexp_exp_i32_f64_e32 v28, v[9:10]
	s_delay_alu instid0(VALU_DEP_3) | instskip(NEXT) | instid1(VALU_DEP_1)
	v_add_f64 v[18:19], v[24:25], -v[18:19]
	v_add_f64 v[16:17], v[16:17], v[18:19]
	s_delay_alu instid0(VALU_DEP_1) | instskip(NEXT) | instid1(VALU_DEP_1)
	v_add_f64 v[16:17], v[26:27], v[16:17]
	v_mul_f64 v[16:17], v[20:21], v[16:17]
	s_delay_alu instid0(VALU_DEP_1) | instskip(NEXT) | instid1(VALU_DEP_1)
	v_add_f64 v[18:19], v[22:23], v[16:17]
	v_mul_f64 v[20:21], v[18:19], v[18:19]
	s_delay_alu instid0(VALU_DEP_1) | instskip(SKIP_3) | instid1(VALU_DEP_2)
	v_fma_f64 v[24:25], v[20:21], s[18:19], s[16:17]
	s_mov_b32 s16, 0xd7f4df2e
	s_mov_b32 s17, 0x3fc7474d
	v_mul_f64 v[26:27], v[18:19], v[20:21]
	v_fma_f64 v[24:25], v[20:21], v[24:25], s[16:17]
	s_mov_b32 s16, 0x16291751
	s_mov_b32 s17, 0x3fcc71c0
	s_delay_alu instid0(VALU_DEP_1) | instid1(SALU_CYCLE_1)
	v_fma_f64 v[24:25], v[20:21], v[24:25], s[16:17]
	s_mov_b32 s16, 0x9b27acf1
	s_mov_b32 s17, 0x3fd24924
	s_delay_alu instid0(VALU_DEP_1) | instid1(SALU_CYCLE_1)
	;; [unrolled: 4-line block ×3, first 2 shown]
	v_fma_f64 v[24:25], v[20:21], v[24:25], s[16:17]
	s_mov_b32 s17, 0x3ca3cee1
	s_mov_b32 s16, 0xe6a7fd77
	s_delay_alu instid0(VALU_DEP_1) | instskip(SKIP_4) | instid1(VALU_DEP_3)
	v_fma_f64 v[20:21], v[20:21], v[24:25], s[12:13]
	v_ldexp_f64 v[24:25], v[18:19], 1
	v_add_f64 v[18:19], v[18:19], -v[22:23]
	s_mov_b32 s12, 0xc384c2aa
	s_mov_b32 s13, 0x3d27fb0a
	v_mul_f64 v[20:21], v[26:27], v[20:21]
	v_subrev_co_ci_u32_e32 v26, vcc_lo, 0, v28, vcc_lo
	v_fma_f64 v[28:29], v[5:6], s[16:17], s[12:13]
	s_mov_b32 s12, 0xfefa39ef
	s_mov_b32 s13, 0x3fe62e42
	s_delay_alu instid0(VALU_DEP_2) | instskip(SKIP_4) | instid1(VALU_DEP_4)
	v_cvt_f64_i32_e32 v[26:27], v26
	v_add_f64 v[16:17], v[16:17], -v[18:19]
	s_mov_b32 s17, 0xbca3cee1
	v_cmp_eq_f64_e32 vcc_lo, 0x7ff00000, v[9:10]
	v_add_f64 v[22:23], v[24:25], v[20:21]
	v_mul_f64 v[30:31], v[26:27], s[12:13]
	s_delay_alu instid0(VALU_DEP_4) | instskip(NEXT) | instid1(VALU_DEP_3)
	v_ldexp_f64 v[16:17], v[16:17], 1
	v_add_f64 v[18:19], v[22:23], -v[24:25]
	v_fma_f64 v[24:25], v[5:6], v[28:29], s[16:17]
	s_delay_alu instid0(VALU_DEP_4) | instskip(SKIP_2) | instid1(VALU_DEP_3)
	v_fma_f64 v[32:33], v[26:27], s[12:13], -v[30:31]
	s_mov_b32 s12, 0x47512144
	s_mov_b32 s13, 0x3da6c25c
	v_add_f64 v[18:19], v[20:21], -v[18:19]
	s_delay_alu instid0(VALU_DEP_3)
	v_add_f64 v[20:21], v[24:25], s[12:13]
	s_mov_b32 s12, 0x3b39803f
	s_mov_b32 s13, 0x3c7abc9e
	s_delay_alu instid0(VALU_DEP_3) | instid1(SALU_CYCLE_1)
	v_fma_f64 v[24:25], v[26:27], s[12:13], v[32:33]
	s_mov_b32 s12, 0x67e58a13
	s_mov_b32 s13, 0x3e205c13
	s_delay_alu instid0(VALU_DEP_3) | instskip(NEXT) | instid1(VALU_DEP_3)
	v_add_f64 v[16:17], v[16:17], v[18:19]
	v_fma_f64 v[18:19], v[5:6], v[20:21], -v[28:29]
	s_delay_alu instid0(VALU_DEP_3) | instskip(NEXT) | instid1(VALU_DEP_3)
	v_add_f64 v[26:27], v[30:31], v[24:25]
	v_add_f64 v[28:29], v[22:23], v[16:17]
	s_delay_alu instid0(VALU_DEP_3) | instskip(SKIP_2) | instid1(VALU_DEP_3)
	v_add_f64 v[18:19], v[18:19], s[12:13]
	s_mov_b32 s12, 0xe7f95efc
	s_mov_b32 s13, 0x3e9102bc
	v_add_f64 v[30:31], v[26:27], -v[30:31]
	s_delay_alu instid0(VALU_DEP_3) | instskip(NEXT) | instid1(VALU_DEP_3)
	v_add_f64 v[32:33], v[26:27], v[28:29]
	v_fma_f64 v[20:21], v[5:6], v[18:19], -v[20:21]
	v_add_f64 v[22:23], v[28:29], -v[22:23]
	s_delay_alu instid0(VALU_DEP_4) | instskip(NEXT) | instid1(VALU_DEP_4)
	v_add_f64 v[24:25], v[24:25], -v[30:31]
	v_add_f64 v[34:35], v[32:33], -v[26:27]
	s_delay_alu instid0(VALU_DEP_4) | instskip(NEXT) | instid1(VALU_DEP_4)
	v_add_f64 v[20:21], v[20:21], s[12:13]
	v_add_f64 v[16:17], v[16:17], -v[22:23]
	s_mov_b32 s12, 0xfe8cfca0
	s_mov_b32 s13, 0x3ef7f900
	s_delay_alu instid0(VALU_DEP_3) | instskip(NEXT) | instid1(VALU_DEP_3)
	v_add_f64 v[36:37], v[32:33], -v[34:35]
	v_fma_f64 v[18:19], v[5:6], v[20:21], -v[18:19]
	v_add_f64 v[22:23], v[28:29], -v[34:35]
	s_delay_alu instid0(VALU_DEP_4) | instskip(NEXT) | instid1(VALU_DEP_4)
	v_add_f64 v[28:29], v[24:25], v[16:17]
	v_add_f64 v[26:27], v[26:27], -v[36:37]
	s_delay_alu instid0(VALU_DEP_4) | instskip(SKIP_2) | instid1(VALU_DEP_2)
	v_add_f64 v[18:19], v[18:19], s[12:13]
	s_mov_b32 s12, 0x75633d73
	s_mov_b32 s13, 0x3f54b82e
	v_add_f64 v[22:23], v[22:23], v[26:27]
	s_delay_alu instid0(VALU_DEP_2) | instskip(SKIP_1) | instid1(VALU_DEP_3)
	v_fma_f64 v[20:21], v[5:6], v[18:19], -v[20:21]
	v_add_f64 v[26:27], v[28:29], -v[24:25]
	v_add_f64 v[22:23], v[28:29], v[22:23]
	s_delay_alu instid0(VALU_DEP_3) | instskip(NEXT) | instid1(VALU_DEP_3)
	v_add_f64 v[20:21], v[20:21], s[12:13]
	v_add_f64 v[28:29], v[28:29], -v[26:27]
	v_add_f64 v[16:17], v[16:17], -v[26:27]
	s_mov_b32 s12, 0x554a9085
	s_mov_b32 s13, 0x3fa26bf6
	s_delay_alu instid0(VALU_DEP_4) | instskip(NEXT) | instid1(VALU_DEP_4)
	v_add_f64 v[30:31], v[32:33], v[22:23]
	v_fma_f64 v[18:19], v[5:6], v[20:21], -v[18:19]
	s_delay_alu instid0(VALU_DEP_4) | instskip(NEXT) | instid1(VALU_DEP_3)
	v_add_f64 v[24:25], v[24:25], -v[28:29]
	v_add_f64 v[26:27], v[30:31], -v[32:33]
	s_delay_alu instid0(VALU_DEP_3) | instskip(NEXT) | instid1(VALU_DEP_3)
	v_add_f64 v[18:19], v[18:19], s[12:13]
	v_add_f64 v[16:17], v[16:17], v[24:25]
	s_mov_b32 s12, 0x81213db9
	s_mov_b32 s13, 0x3fd608d8
	s_delay_alu instid0(VALU_DEP_3) | instskip(NEXT) | instid1(VALU_DEP_3)
	v_add_f64 v[22:23], v[22:23], -v[26:27]
	v_fma_f64 v[20:21], v[5:6], v[18:19], -v[20:21]
	s_delay_alu instid0(VALU_DEP_2) | instskip(NEXT) | instid1(VALU_DEP_2)
	v_add_f64 v[16:17], v[16:17], v[22:23]
	v_add_f64 v[20:21], v[20:21], s[12:13]
	s_mov_b32 s12, 0xe9d2f61f
	s_mov_b32 s13, 0xbfe12166
	s_delay_alu instid0(VALU_DEP_2) | instskip(NEXT) | instid1(VALU_DEP_2)
	v_add_f64 v[16:17], v[30:31], v[16:17]
	v_fma_f64 v[5:6], v[5:6], v[20:21], -v[18:19]
	s_delay_alu instid0(VALU_DEP_2) | instskip(SKIP_1) | instid1(VALU_DEP_3)
	v_dual_cndmask_b32 v17, v17, v10 :: v_dual_cndmask_b32 v16, v16, v9
	v_cmp_neq_f64_e32 vcc_lo, 0, v[9:10]
	v_add_f64 v[5:6], v[5:6], s[12:13]
	s_delay_alu instid0(VALU_DEP_3) | instskip(NEXT) | instid1(VALU_DEP_4)
	v_cndmask_b32_e32 v10, 0xfff00000, v17, vcc_lo
	v_cndmask_b32_e32 v9, 0, v16, vcc_lo
	s_delay_alu instid0(VALU_DEP_3) | instskip(NEXT) | instid1(VALU_DEP_2)
	v_add_f64 v[5:6], v[5:6], -v[18:19]
	v_mul_f64 v[9:10], v[9:10], v[13:14]
	s_delay_alu instid0(VALU_DEP_1)
	v_fma_f64 v[9:10], v[5:6], 0.5, -v[9:10]
.LBB5_35:
	s_and_not1_saveexec_b32 s10, s10
	s_cbranch_execz .LBB5_37
; %bb.36:
	v_div_scale_f64 v[9:10], null, v[5:6], v[5:6], 0x40200000
	v_div_scale_f64 v[18:19], vcc_lo, 0x40200000, v[5:6], 0x40200000
	s_mov_b32 s12, 0x93812603
	s_mov_b32 s13, 0xbc72fecc
	;; [unrolled: 1-line block ×4, first 2 shown]
	v_cmp_nlt_f64_e64 s0, 0x4090cc00, v[5:6]
	s_delay_alu instid0(VALU_DEP_3) | instskip(SKIP_2) | instid1(VALU_DEP_1)
	v_rcp_f64_e32 v[13:14], v[9:10]
	s_waitcnt_depctr 0xfff
	v_fma_f64 v[16:17], -v[9:10], v[13:14], 1.0
	v_fma_f64 v[13:14], v[13:14], v[16:17], v[13:14]
	s_delay_alu instid0(VALU_DEP_1) | instskip(NEXT) | instid1(VALU_DEP_1)
	v_fma_f64 v[16:17], -v[9:10], v[13:14], 1.0
	v_fma_f64 v[13:14], v[13:14], v[16:17], v[13:14]
	s_delay_alu instid0(VALU_DEP_1) | instskip(NEXT) | instid1(VALU_DEP_1)
	v_mul_f64 v[16:17], v[18:19], v[13:14]
	v_fma_f64 v[9:10], -v[9:10], v[16:17], v[18:19]
	s_delay_alu instid0(VALU_DEP_1) | instskip(SKIP_1) | instid1(VALU_DEP_2)
	v_div_fmas_f64 v[9:10], v[9:10], v[13:14], v[16:17]
	v_cmp_gt_f64_e32 vcc_lo, 0x10000000, v[5:6]
	v_div_fixup_f64 v[9:10], v[9:10], v[5:6], 0x40200000
	v_cndmask_b32_e64 v24, 0, 1, vcc_lo
	s_delay_alu instid0(VALU_DEP_1) | instskip(NEXT) | instid1(VALU_DEP_1)
	v_lshlrev_b32_e32 v24, 8, v24
	v_ldexp_f64 v[24:25], v[5:6], v24
	s_delay_alu instid0(VALU_DEP_4) | instskip(NEXT) | instid1(VALU_DEP_2)
	v_add_f64 v[9:10], v[9:10], -2.0
	v_rsq_f64_e32 v[26:27], v[24:25]
	s_delay_alu instid0(VALU_DEP_1)
	v_fma_f64 v[13:14], v[9:10], s[16:17], s[12:13]
	s_mov_b32 s17, 0xbc5871a5
	s_mov_b32 s12, 0x41a8cdf4
	;; [unrolled: 1-line block ×3, first 2 shown]
	s_waitcnt_depctr 0xfff
	v_mul_f64 v[28:29], v[24:25], v[26:27]
	v_mul_f64 v[26:27], v[26:27], 0.5
	v_fma_f64 v[16:17], v[9:10], v[13:14], s[16:17]
	s_mov_b32 s16, 0x6a5dcb37
	s_mov_b32 s17, 0x3e5ade15
	s_delay_alu instid0(VALU_DEP_2) | instskip(NEXT) | instid1(VALU_DEP_2)
	v_fma_f64 v[30:31], -v[26:27], v[28:29], 0.5
	v_add_f64 v[16:17], v[16:17], s[12:13]
	s_mov_b32 s12, 0x74d77641
	s_mov_b32 s13, 0xbca82f94
	s_delay_alu instid0(VALU_DEP_2) | instskip(SKIP_1) | instid1(VALU_DEP_3)
	v_fma_f64 v[28:29], v[28:29], v[30:31], v[28:29]
	v_fma_f64 v[26:27], v[26:27], v[30:31], v[26:27]
	v_fma_f64 v[13:14], v[9:10], v[16:17], -v[13:14]
	s_delay_alu instid0(VALU_DEP_3) | instskip(NEXT) | instid1(VALU_DEP_2)
	v_fma_f64 v[30:31], -v[28:29], v[28:29], v[24:25]
	v_add_f64 v[13:14], v[13:14], s[12:13]
	s_mov_b32 s12, 0x6b94785b
	s_mov_b32 s13, 0x3cc3dbf9
	s_delay_alu instid0(VALU_DEP_1) | instskip(NEXT) | instid1(VALU_DEP_1)
	v_fma_f64 v[16:17], v[9:10], v[13:14], -v[16:17]
	v_add_f64 v[16:17], v[16:17], s[12:13]
	s_mov_b32 s12, 0xecfadd36
	s_mov_b32 s13, 0xbce0a690
	s_delay_alu instid0(VALU_DEP_1) | instskip(NEXT) | instid1(VALU_DEP_1)
	v_fma_f64 v[13:14], v[9:10], v[16:17], -v[13:14]
	;; [unrolled: 5-line block ×14, first 2 shown]
	v_add_f64 v[13:14], v[13:14], s[12:13]
	s_mov_b32 s12, 0x652b82fe
	s_mov_b32 s13, 0xbff71547
	s_delay_alu instid0(SALU_CYCLE_1) | instskip(SKIP_2) | instid1(VALU_DEP_2)
	v_mul_f64 v[18:19], v[5:6], s[12:13]
	s_mov_b32 s12, 0x81e3e46f
	s_mov_b32 s13, 0x3e929159
	v_fma_f64 v[16:17], v[9:10], v[13:14], -v[16:17]
	s_delay_alu instid0(VALU_DEP_2) | instskip(NEXT) | instid1(VALU_DEP_2)
	v_rndne_f64_e32 v[18:19], v[18:19]
	v_add_f64 v[16:17], v[16:17], s[12:13]
	s_mov_b32 s12, 0xfefa39ef
	s_mov_b32 s13, 0xbfe62e42
	s_delay_alu instid0(VALU_DEP_2) | instid1(SALU_CYCLE_1)
	v_fma_f64 v[20:21], v[18:19], s[12:13], -v[5:6]
	s_mov_b32 s12, 0x3b39803f
	s_mov_b32 s13, 0xbc7abc9e
	s_delay_alu instid0(VALU_DEP_2) | instskip(NEXT) | instid1(VALU_DEP_2)
	v_fma_f64 v[13:14], v[9:10], v[16:17], -v[13:14]
	v_fma_f64 v[20:21], v[18:19], s[12:13], v[20:21]
	s_mov_b32 s12, 0x7f18d3a9
	s_mov_b32 s13, 0xbebebb54
	s_delay_alu instid0(VALU_DEP_2) | instid1(SALU_CYCLE_1)
	v_add_f64 v[13:14], v[13:14], s[12:13]
	s_mov_b32 s12, 0xfca7ab0c
	s_mov_b32 s13, 0x3e928af3
	s_delay_alu instid0(VALU_DEP_2) | instid1(SALU_CYCLE_1)
	v_fma_f64 v[22:23], v[20:21], s[16:17], s[12:13]
	s_mov_b32 s12, 0x623fde64
	s_mov_b32 s13, 0x3ec71dee
	s_delay_alu instid0(VALU_DEP_2) | instskip(NEXT) | instid1(VALU_DEP_2)
	v_fma_f64 v[16:17], v[9:10], v[13:14], -v[16:17]
	v_fma_f64 v[22:23], v[20:21], v[22:23], s[12:13]
	s_mov_b32 s12, 0xcc7470a9
	s_mov_b32 s13, 0x3eed413f
	s_delay_alu instid0(VALU_DEP_2) | instid1(SALU_CYCLE_1)
	v_add_f64 v[16:17], v[16:17], s[12:13]
	s_mov_b32 s12, 0x7c89e6b0
	s_mov_b32 s13, 0x3efa0199
	s_delay_alu instid0(VALU_DEP_2) | instid1(SALU_CYCLE_1)
	v_fma_f64 v[22:23], v[20:21], v[22:23], s[12:13]
	;; [unrolled: 13-line block ×5, first 2 shown]
	s_mov_b32 s12, 0x9f4e6907
	s_mov_b32 s13, 0x400385bd
	s_delay_alu instid0(VALU_DEP_2) | instskip(SKIP_2) | instid1(VALU_DEP_4)
	v_fma_f64 v[9:10], v[9:10], v[13:14], -v[16:17]
	v_fma_f64 v[13:14], v[30:31], v[26:27], v[28:29]
	v_cvt_i32_f64_e32 v28, v[18:19]
	v_fma_f64 v[22:23], v[20:21], v[22:23], 1.0
	s_delay_alu instid0(VALU_DEP_4) | instskip(NEXT) | instid1(VALU_DEP_4)
	v_add_f64 v[9:10], v[9:10], s[12:13]
	v_fma_f64 v[18:19], -v[13:14], v[13:14], v[24:25]
	s_delay_alu instid0(VALU_DEP_3) | instskip(NEXT) | instid1(VALU_DEP_3)
	v_fma_f64 v[20:21], v[20:21], v[22:23], 1.0
	v_add_f64 v[9:10], v[9:10], -v[16:17]
	s_delay_alu instid0(VALU_DEP_3) | instskip(NEXT) | instid1(VALU_DEP_3)
	v_fma_f64 v[13:14], v[18:19], v[26:27], v[13:14]
	v_ldexp_f64 v[16:17], v[20:21], v28
	s_delay_alu instid0(VALU_DEP_3) | instskip(SKIP_2) | instid1(VALU_DEP_2)
	v_mul_f64 v[5:6], v[9:10], 0.5
	v_cndmask_b32_e64 v9, 0, 0xffffff80, vcc_lo
	v_cmp_class_f64_e64 vcc_lo, v[24:25], 0x260
	v_ldexp_f64 v[9:10], v[13:14], v9
	v_cndmask_b32_e64 v14, 0, v17, s0
	v_cndmask_b32_e64 v13, 0, v16, s0
	s_delay_alu instid0(VALU_DEP_1) | instskip(NEXT) | instid1(VALU_DEP_4)
	v_mul_f64 v[5:6], v[13:14], v[5:6]
	v_dual_cndmask_b32 v10, v10, v25 :: v_dual_cndmask_b32 v9, v9, v24
	s_delay_alu instid0(VALU_DEP_1) | instskip(NEXT) | instid1(VALU_DEP_1)
	v_div_scale_f64 v[13:14], null, v[9:10], v[9:10], v[5:6]
	v_rcp_f64_e32 v[16:17], v[13:14]
	s_waitcnt_depctr 0xfff
	v_fma_f64 v[18:19], -v[13:14], v[16:17], 1.0
	s_delay_alu instid0(VALU_DEP_1) | instskip(NEXT) | instid1(VALU_DEP_1)
	v_fma_f64 v[16:17], v[16:17], v[18:19], v[16:17]
	v_fma_f64 v[18:19], -v[13:14], v[16:17], 1.0
	s_delay_alu instid0(VALU_DEP_1) | instskip(SKIP_1) | instid1(VALU_DEP_1)
	v_fma_f64 v[16:17], v[16:17], v[18:19], v[16:17]
	v_div_scale_f64 v[18:19], vcc_lo, v[5:6], v[9:10], v[5:6]
	v_mul_f64 v[20:21], v[18:19], v[16:17]
	s_delay_alu instid0(VALU_DEP_1) | instskip(NEXT) | instid1(VALU_DEP_1)
	v_fma_f64 v[13:14], -v[13:14], v[20:21], v[18:19]
	v_div_fmas_f64 v[13:14], v[13:14], v[16:17], v[20:21]
	s_delay_alu instid0(VALU_DEP_1)
	v_div_fixup_f64 v[9:10], v[13:14], v[9:10], v[5:6]
.LBB5_37:
	s_or_b32 exec_lo, exec_lo, s10
.LBB5_38:
	s_delay_alu instid0(SALU_CYCLE_1)
	s_or_b32 exec_lo, exec_lo, s9
.LBB5_39:
	s_delay_alu instid0(SALU_CYCLE_1) | instskip(NEXT) | instid1(SALU_CYCLE_1)
	s_or_b32 exec_lo, exec_lo, s1
	s_mov_b32 s1, exec_lo
	v_cmpx_neq_f64_e32 0, v[7:8]
	s_cbranch_execz .LBB5_51
; %bb.40:
	v_mov_b32_e32 v11, 0
	v_mov_b32_e32 v12, 0x7ff80000
	s_mov_b32 s9, exec_lo
	v_cmpx_ngt_f64_e32 0, v[7:8]
	s_cbranch_execz .LBB5_50
; %bb.41:
	s_mov_b32 s0, exec_lo
	v_cmpx_ge_f64_e32 2.0, v[7:8]
	s_xor_b32 s10, exec_lo, s0
	s_cbranch_execz .LBB5_47
; %bb.42:
	v_mul_f64 v[5:6], v[7:8], 0.5
	s_mov_b32 s0, exec_lo
                                        ; implicit-def: $vgpr11_vgpr12
	v_cmpx_ge_f64_e32 0x40200000, v[7:8]
	s_xor_b32 s0, exec_lo, s0
	s_cbranch_execz .LBB5_44
; %bb.43:
	s_delay_alu instid0(VALU_DEP_2)
	v_add_f64 v[11:12], v[5:6], -2.0
	s_mov_b32 s12, 0x977da589
	s_mov_b32 s13, 0x3c833362
	;; [unrolled: 1-line block ×4, first 2 shown]
	v_cmp_nlt_f64_e32 vcc_lo, 0x40900000, v[7:8]
	s_delay_alu instid0(VALU_DEP_2) | instskip(SKIP_3) | instid1(VALU_DEP_1)
	v_fma_f64 v[13:14], v[11:12], s[16:17], s[12:13]
	s_mov_b32 s17, 0x3c545cb7
	s_mov_b32 s12, 0x721ebbb4
	s_mov_b32 s13, 0xbcb184eb
	v_fma_f64 v[16:17], v[11:12], v[13:14], s[16:17]
	s_mov_b32 s16, 0x6a5dcb37
	s_mov_b32 s17, 0x3e5ade15
	s_delay_alu instid0(VALU_DEP_1) | instskip(SKIP_2) | instid1(VALU_DEP_1)
	v_add_f64 v[16:17], v[16:17], s[12:13]
	s_mov_b32 s12, 0x93f65eba
	s_mov_b32 s13, 0x3cdee6d8
	v_fma_f64 v[13:14], v[11:12], v[16:17], -v[13:14]
	s_delay_alu instid0(VALU_DEP_1) | instskip(SKIP_2) | instid1(VALU_DEP_1)
	v_add_f64 v[13:14], v[13:14], s[12:13]
	s_mov_b32 s12, 0xc297fbeb
	s_mov_b32 s13, 0xbd0a5022
	v_fma_f64 v[16:17], v[11:12], v[13:14], -v[16:17]
	s_delay_alu instid0(VALU_DEP_1) | instskip(SKIP_2) | instid1(VALU_DEP_1)
	v_add_f64 v[16:17], v[16:17], s[12:13]
	s_mov_b32 s12, 0x4b262627
	s_mov_b32 s13, 0x3d359b46
	v_fma_f64 v[13:14], v[11:12], v[16:17], -v[13:14]
	s_delay_alu instid0(VALU_DEP_1) | instskip(SKIP_2) | instid1(VALU_DEP_1)
	v_add_f64 v[13:14], v[13:14], s[12:13]
	s_mov_b32 s12, 0x62ee1af0
	s_mov_b32 s13, 0xbd61164c
	v_fma_f64 v[16:17], v[11:12], v[13:14], -v[16:17]
	s_delay_alu instid0(VALU_DEP_1) | instskip(SKIP_2) | instid1(VALU_DEP_1)
	v_add_f64 v[16:17], v[16:17], s[12:13]
	s_mov_b32 s12, 0xe19bd324
	s_mov_b32 s13, 0x3d89fe2f
	v_fma_f64 v[13:14], v[11:12], v[16:17], -v[13:14]
	s_delay_alu instid0(VALU_DEP_1) | instskip(SKIP_2) | instid1(VALU_DEP_1)
	v_add_f64 v[13:14], v[13:14], s[12:13]
	s_mov_b32 s12, 0x7a946abc
	s_mov_b32 s13, 0xbdb2fc95
	v_fma_f64 v[16:17], v[11:12], v[13:14], -v[16:17]
	s_delay_alu instid0(VALU_DEP_1) | instskip(SKIP_2) | instid1(VALU_DEP_1)
	v_add_f64 v[16:17], v[16:17], s[12:13]
	s_mov_b32 s12, 0xcc743c10
	s_mov_b32 s13, 0x3dda98be
	v_fma_f64 v[13:14], v[11:12], v[16:17], -v[13:14]
	s_delay_alu instid0(VALU_DEP_1) | instskip(SKIP_2) | instid1(VALU_DEP_1)
	v_add_f64 v[13:14], v[13:14], s[12:13]
	s_mov_b32 s12, 0x13ae9556
	s_mov_b32 s13, 0xbe01d4fe
	v_fma_f64 v[16:17], v[11:12], v[13:14], -v[16:17]
	s_delay_alu instid0(VALU_DEP_1) | instskip(SKIP_2) | instid1(VALU_DEP_1)
	v_add_f64 v[16:17], v[16:17], s[12:13]
	s_mov_b32 s12, 0xa454cb34
	s_mov_b32 s13, 0x3e26d903
	v_fma_f64 v[13:14], v[11:12], v[16:17], -v[13:14]
	s_delay_alu instid0(VALU_DEP_1) | instskip(SKIP_2) | instid1(VALU_DEP_1)
	v_add_f64 v[13:14], v[13:14], s[12:13]
	s_mov_b32 s12, 0x8c0b30ab
	s_mov_b32 s13, 0xbe4beaf6
	v_fma_f64 v[16:17], v[11:12], v[13:14], -v[16:17]
	s_delay_alu instid0(VALU_DEP_1) | instskip(SKIP_2) | instid1(VALU_DEP_1)
	v_add_f64 v[16:17], v[16:17], s[12:13]
	s_mov_b32 s12, 0x9d4d6435
	s_mov_b32 s13, 0x3e703b76
	v_fma_f64 v[13:14], v[11:12], v[16:17], -v[13:14]
	s_delay_alu instid0(VALU_DEP_1) | instskip(SKIP_2) | instid1(VALU_DEP_1)
	v_add_f64 v[13:14], v[13:14], s[12:13]
	s_mov_b32 s12, 0x8f227f8d
	s_mov_b32 s13, 0xbe91ec63
	v_fma_f64 v[16:17], v[11:12], v[13:14], -v[16:17]
	s_delay_alu instid0(VALU_DEP_1) | instskip(SKIP_2) | instid1(VALU_DEP_1)
	v_add_f64 v[16:17], v[16:17], s[12:13]
	s_mov_b32 s12, 0x978cf4ac
	s_mov_b32 s13, 0x3eb2bf24
	v_fma_f64 v[13:14], v[11:12], v[16:17], -v[13:14]
	s_delay_alu instid0(VALU_DEP_1) | instskip(SKIP_2) | instid1(VALU_DEP_1)
	v_add_f64 v[13:14], v[13:14], s[12:13]
	s_mov_b32 s12, 0xcba56427
	s_mov_b32 s13, 0xbed2866f
	v_fma_f64 v[16:17], v[11:12], v[13:14], -v[16:17]
	s_delay_alu instid0(VALU_DEP_1) | instskip(SKIP_2) | instid1(VALU_DEP_1)
	v_add_f64 v[16:17], v[16:17], s[12:13]
	s_mov_b32 s12, 0xbe9a2859
	s_mov_b32 s13, 0x3ef13f58
	v_fma_f64 v[13:14], v[11:12], v[16:17], -v[13:14]
	s_delay_alu instid0(VALU_DEP_1) | instskip(SKIP_2) | instid1(VALU_DEP_1)
	v_add_f64 v[13:14], v[13:14], s[12:13]
	s_mov_b32 s12, 0x59c41d5a
	s_mov_b32 s13, 0xbf0e2b26
	v_fma_f64 v[16:17], v[11:12], v[13:14], -v[16:17]
	s_delay_alu instid0(VALU_DEP_1) | instskip(SKIP_2) | instid1(VALU_DEP_1)
	v_add_f64 v[16:17], v[16:17], s[12:13]
	s_mov_b32 s12, 0x74107cab
	s_mov_b32 s13, 0x3f28b51b
	v_fma_f64 v[13:14], v[11:12], v[16:17], -v[13:14]
	s_delay_alu instid0(VALU_DEP_1) | instskip(SKIP_2) | instid1(VALU_DEP_1)
	v_add_f64 v[13:14], v[13:14], s[12:13]
	s_mov_b32 s12, 0x1f15eb52
	s_mov_b32 s13, 0xbf42e2fd
	v_fma_f64 v[16:17], v[11:12], v[13:14], -v[16:17]
	s_delay_alu instid0(VALU_DEP_1) | instskip(SKIP_2) | instid1(VALU_DEP_1)
	v_add_f64 v[16:17], v[16:17], s[12:13]
	s_mov_b32 s12, 0x8a12100e
	s_mov_b32 s13, 0x3f5adc75
	v_fma_f64 v[13:14], v[11:12], v[16:17], -v[13:14]
	s_delay_alu instid0(VALU_DEP_1) | instskip(SKIP_2) | instid1(VALU_DEP_1)
	v_add_f64 v[13:14], v[13:14], s[12:13]
	s_mov_b32 s12, 0x201aa849
	s_mov_b32 s13, 0xbf71b65e
	v_fma_f64 v[16:17], v[11:12], v[13:14], -v[16:17]
	s_delay_alu instid0(VALU_DEP_1) | instskip(SKIP_2) | instid1(SALU_CYCLE_1)
	v_add_f64 v[16:17], v[16:17], s[12:13]
	s_mov_b32 s12, 0x652b82fe
	s_mov_b32 s13, 0x3ff71547
	v_mul_f64 v[18:19], v[7:8], s[12:13]
	s_mov_b32 s12, 0xf3dde3dd
	s_mov_b32 s13, 0x3f859961
	s_delay_alu instid0(VALU_DEP_2) | instskip(NEXT) | instid1(VALU_DEP_2)
	v_fma_f64 v[13:14], v[11:12], v[16:17], -v[13:14]
	v_rndne_f64_e32 v[18:19], v[18:19]
	s_delay_alu instid0(VALU_DEP_2)
	v_add_f64 v[13:14], v[13:14], s[12:13]
	s_mov_b32 s12, 0xfefa39ef
	s_mov_b32 s13, 0xbfe62e42
	s_delay_alu instid0(VALU_DEP_2) | instid1(SALU_CYCLE_1)
	v_fma_f64 v[20:21], v[18:19], s[12:13], v[7:8]
	s_mov_b32 s12, 0x3b39803f
	s_mov_b32 s13, 0xbc7abc9e
	s_delay_alu instid0(VALU_DEP_2) | instskip(NEXT) | instid1(VALU_DEP_2)
	v_fma_f64 v[16:17], v[11:12], v[13:14], -v[16:17]
	v_fma_f64 v[20:21], v[18:19], s[12:13], v[20:21]
	s_mov_b32 s12, 0xf121b6f0
	s_mov_b32 s13, 0xbf984e9e
	v_cvt_i32_f64_e32 v18, v[18:19]
	s_delay_alu instid0(VALU_DEP_3)
	v_add_f64 v[16:17], v[16:17], s[12:13]
	s_mov_b32 s12, 0xfca7ab0c
	s_mov_b32 s13, 0x3e928af3
	s_delay_alu instid0(VALU_DEP_3) | instid1(SALU_CYCLE_1)
	v_fma_f64 v[22:23], v[20:21], s[16:17], s[12:13]
	s_mov_b32 s12, 0x623fde64
	s_mov_b32 s13, 0x3ec71dee
	s_delay_alu instid0(VALU_DEP_2) | instskip(NEXT) | instid1(VALU_DEP_2)
	v_fma_f64 v[13:14], v[11:12], v[16:17], -v[13:14]
	v_fma_f64 v[22:23], v[20:21], v[22:23], s[12:13]
	s_mov_b32 s12, 0xcea8a32d
	s_mov_b32 s13, 0x3fa93e8a
	s_delay_alu instid0(VALU_DEP_2) | instid1(SALU_CYCLE_1)
	v_add_f64 v[13:14], v[13:14], s[12:13]
	s_mov_b32 s12, 0x7c89e6b0
	s_mov_b32 s13, 0x3efa0199
	s_delay_alu instid0(VALU_DEP_2) | instid1(SALU_CYCLE_1)
	v_fma_f64 v[22:23], v[20:21], v[22:23], s[12:13]
	s_mov_b32 s12, 0x14761f6e
	s_mov_b32 s13, 0x3f2a01a0
	s_delay_alu instid0(VALU_DEP_2) | instskip(NEXT) | instid1(VALU_DEP_2)
	v_fma_f64 v[16:17], v[11:12], v[13:14], -v[16:17]
	v_fma_f64 v[22:23], v[20:21], v[22:23], s[12:13]
	s_mov_b32 s12, 0x342d06ea
	s_mov_b32 s13, 0xbfb84b70
	s_delay_alu instid0(VALU_DEP_2) | instid1(SALU_CYCLE_1)
	v_add_f64 v[16:17], v[16:17], s[12:13]
	s_mov_b32 s12, 0x1852b7b0
	s_mov_b32 s13, 0x3f56c16c
	s_delay_alu instid0(VALU_DEP_2) | instid1(SALU_CYCLE_1)
	;; [unrolled: 13-line block ×4, first 2 shown]
	v_fma_f64 v[22:23], v[20:21], v[22:23], s[12:13]
	s_mov_b32 s12, 0x9035a22a
	s_mov_b32 s13, 0x3fe5a84e
	s_delay_alu instid0(VALU_DEP_2) | instskip(NEXT) | instid1(VALU_DEP_2)
	v_fma_f64 v[11:12], v[11:12], v[16:17], -v[13:14]
	v_fma_f64 v[16:17], v[20:21], v[22:23], 1.0
	s_delay_alu instid0(VALU_DEP_2) | instskip(NEXT) | instid1(VALU_DEP_2)
	v_add_f64 v[11:12], v[11:12], s[12:13]
	v_fma_f64 v[16:17], v[20:21], v[16:17], 1.0
	s_delay_alu instid0(VALU_DEP_2) | instskip(NEXT) | instid1(VALU_DEP_2)
	v_add_f64 v[11:12], v[11:12], -v[13:14]
	v_ldexp_f64 v[13:14], v[16:17], v18
	s_delay_alu instid0(VALU_DEP_2) | instskip(NEXT) | instid1(VALU_DEP_2)
	v_mul_f64 v[11:12], v[11:12], 0.5
	v_cndmask_b32_e32 v14, 0x7ff00000, v14, vcc_lo
	s_delay_alu instid0(VALU_DEP_3) | instskip(NEXT) | instid1(VALU_DEP_1)
	v_cndmask_b32_e32 v13, 0, v13, vcc_lo
	v_mul_f64 v[11:12], v[13:14], v[11:12]
.LBB5_44:
	s_and_not1_saveexec_b32 s11, s0
	s_cbranch_execz .LBB5_46
; %bb.45:
	v_div_scale_f64 v[11:12], null, v[7:8], v[7:8], 0x40400000
	v_div_scale_f64 v[18:19], vcc_lo, 0x40400000, v[7:8], 0x40400000
	s_mov_b32 s12, 0x66119130
	s_mov_b32 s13, 0xbc5646da
	;; [unrolled: 1-line block ×4, first 2 shown]
	v_cmp_nlt_f64_e64 s0, 0x40900000, v[7:8]
	s_delay_alu instid0(VALU_DEP_3) | instskip(SKIP_2) | instid1(VALU_DEP_1)
	v_rcp_f64_e32 v[13:14], v[11:12]
	s_waitcnt_depctr 0xfff
	v_fma_f64 v[16:17], -v[11:12], v[13:14], 1.0
	v_fma_f64 v[13:14], v[13:14], v[16:17], v[13:14]
	s_delay_alu instid0(VALU_DEP_1) | instskip(NEXT) | instid1(VALU_DEP_1)
	v_fma_f64 v[16:17], -v[11:12], v[13:14], 1.0
	v_fma_f64 v[13:14], v[13:14], v[16:17], v[13:14]
	s_delay_alu instid0(VALU_DEP_1) | instskip(NEXT) | instid1(VALU_DEP_1)
	v_mul_f64 v[16:17], v[18:19], v[13:14]
	v_fma_f64 v[11:12], -v[11:12], v[16:17], v[18:19]
	s_delay_alu instid0(VALU_DEP_1) | instskip(SKIP_1) | instid1(VALU_DEP_2)
	v_div_fmas_f64 v[11:12], v[11:12], v[13:14], v[16:17]
	v_cmp_gt_f64_e32 vcc_lo, 0x10000000, v[7:8]
	v_div_fixup_f64 v[11:12], v[11:12], v[7:8], 0x40400000
	v_cndmask_b32_e64 v24, 0, 1, vcc_lo
	s_delay_alu instid0(VALU_DEP_1) | instskip(NEXT) | instid1(VALU_DEP_1)
	v_lshlrev_b32_e32 v24, 8, v24
	v_ldexp_f64 v[24:25], v[7:8], v24
	s_delay_alu instid0(VALU_DEP_4) | instskip(NEXT) | instid1(VALU_DEP_2)
	v_add_f64 v[11:12], v[11:12], -2.0
	v_rsq_f64_e32 v[26:27], v[24:25]
	s_delay_alu instid0(VALU_DEP_1)
	v_fma_f64 v[13:14], v[11:12], s[16:17], s[12:13]
	s_mov_b32 s17, 0x3c60adb7
	s_mov_b32 s12, 0x12d98421
	;; [unrolled: 1-line block ×3, first 2 shown]
	s_waitcnt_depctr 0xfff
	v_mul_f64 v[28:29], v[24:25], v[26:27]
	v_mul_f64 v[26:27], v[26:27], 0.5
	v_fma_f64 v[16:17], v[11:12], v[13:14], s[16:17]
	s_mov_b32 s16, 0x6a5dcb37
	s_mov_b32 s17, 0x3e5ade15
	s_delay_alu instid0(VALU_DEP_2) | instskip(NEXT) | instid1(VALU_DEP_2)
	v_fma_f64 v[30:31], -v[26:27], v[28:29], 0.5
	v_add_f64 v[16:17], v[16:17], s[12:13]
	s_mov_b32 s12, 0x76041cd
	s_mov_b32 s13, 0x3c83f3dd
	s_delay_alu instid0(VALU_DEP_2) | instskip(SKIP_1) | instid1(VALU_DEP_3)
	v_fma_f64 v[28:29], v[28:29], v[30:31], v[28:29]
	v_fma_f64 v[26:27], v[26:27], v[30:31], v[26:27]
	v_fma_f64 v[13:14], v[11:12], v[16:17], -v[13:14]
	s_delay_alu instid0(VALU_DEP_3) | instskip(NEXT) | instid1(VALU_DEP_2)
	v_fma_f64 v[30:31], -v[28:29], v[28:29], v[24:25]
	v_add_f64 v[13:14], v[13:14], s[12:13]
	s_mov_b32 s12, 0xabd21fe4
	s_mov_b32 s13, 0xbcb4600b
	s_delay_alu instid0(VALU_DEP_1) | instskip(NEXT) | instid1(VALU_DEP_1)
	v_fma_f64 v[16:17], v[11:12], v[13:14], -v[16:17]
	v_add_f64 v[16:17], v[16:17], s[12:13]
	s_mov_b32 s12, 0xd908de38
	s_mov_b32 s13, 0xbcb8aee7
	s_delay_alu instid0(VALU_DEP_1) | instskip(NEXT) | instid1(VALU_DEP_1)
	v_fma_f64 v[13:14], v[11:12], v[16:17], -v[13:14]
	;; [unrolled: 5-line block ×14, first 2 shown]
	v_add_f64 v[13:14], v[13:14], s[12:13]
	s_mov_b32 s12, 0x652b82fe
	s_mov_b32 s13, 0x3ff71547
	s_delay_alu instid0(SALU_CYCLE_1) | instskip(SKIP_2) | instid1(VALU_DEP_2)
	v_mul_f64 v[18:19], v[7:8], s[12:13]
	s_mov_b32 s12, 0xa9225b87
	s_mov_b32 s13, 0x3e2d2c64
	v_fma_f64 v[16:17], v[11:12], v[13:14], -v[16:17]
	s_delay_alu instid0(VALU_DEP_2) | instskip(NEXT) | instid1(VALU_DEP_2)
	v_rndne_f64_e32 v[18:19], v[18:19]
	v_add_f64 v[16:17], v[16:17], s[12:13]
	s_mov_b32 s12, 0xfefa39ef
	s_mov_b32 s13, 0xbfe62e42
	s_delay_alu instid0(VALU_DEP_2) | instid1(SALU_CYCLE_1)
	v_fma_f64 v[20:21], v[18:19], s[12:13], v[7:8]
	s_mov_b32 s12, 0x3b39803f
	s_mov_b32 s13, 0xbc7abc9e
	s_delay_alu instid0(VALU_DEP_2) | instskip(NEXT) | instid1(VALU_DEP_2)
	v_fma_f64 v[13:14], v[11:12], v[16:17], -v[13:14]
	v_fma_f64 v[20:21], v[18:19], s[12:13], v[20:21]
	s_mov_b32 s12, 0x80d6d56d
	s_mov_b32 s13, 0x3e585692
	s_delay_alu instid0(VALU_DEP_2) | instid1(SALU_CYCLE_1)
	v_add_f64 v[13:14], v[13:14], s[12:13]
	s_mov_b32 s12, 0xfca7ab0c
	s_mov_b32 s13, 0x3e928af3
	s_delay_alu instid0(VALU_DEP_2) | instid1(SALU_CYCLE_1)
	v_fma_f64 v[22:23], v[20:21], s[16:17], s[12:13]
	s_mov_b32 s12, 0x623fde64
	s_mov_b32 s13, 0x3ec71dee
	s_delay_alu instid0(VALU_DEP_2) | instskip(NEXT) | instid1(VALU_DEP_2)
	v_fma_f64 v[16:17], v[11:12], v[13:14], -v[16:17]
	v_fma_f64 v[22:23], v[20:21], v[22:23], s[12:13]
	s_mov_b32 s12, 0xd9cd616e
	s_mov_b32 s13, 0x3e8b8007
	s_delay_alu instid0(VALU_DEP_2) | instid1(SALU_CYCLE_1)
	;; [unrolled: 13-line block ×5, first 2 shown]
	v_add_f64 v[13:14], v[13:14], s[12:13]
	s_mov_b32 s12, 11
	s_mov_b32 s13, 0x3fe00000
	s_delay_alu instid0(VALU_DEP_2) | instid1(SALU_CYCLE_1)
	v_fma_f64 v[22:23], v[20:21], v[22:23], s[12:13]
	s_mov_b32 s12, 0xaca809cb
	s_mov_b32 s13, 0x3fe9be62
	s_delay_alu instid0(VALU_DEP_2) | instskip(SKIP_2) | instid1(VALU_DEP_4)
	v_fma_f64 v[11:12], v[11:12], v[13:14], -v[16:17]
	v_fma_f64 v[13:14], v[30:31], v[26:27], v[28:29]
	v_cvt_i32_f64_e32 v28, v[18:19]
	v_fma_f64 v[22:23], v[20:21], v[22:23], 1.0
	s_delay_alu instid0(VALU_DEP_4) | instskip(NEXT) | instid1(VALU_DEP_4)
	v_add_f64 v[11:12], v[11:12], s[12:13]
	v_fma_f64 v[18:19], -v[13:14], v[13:14], v[24:25]
	s_delay_alu instid0(VALU_DEP_3) | instskip(NEXT) | instid1(VALU_DEP_3)
	v_fma_f64 v[20:21], v[20:21], v[22:23], 1.0
	v_add_f64 v[11:12], v[11:12], -v[16:17]
	s_delay_alu instid0(VALU_DEP_3) | instskip(SKIP_4) | instid1(VALU_DEP_4)
	v_fma_f64 v[13:14], v[18:19], v[26:27], v[13:14]
	v_cndmask_b32_e64 v18, 0, 0xffffff80, vcc_lo
	v_cmp_class_f64_e64 vcc_lo, v[24:25], 0x260
	v_ldexp_f64 v[16:17], v[20:21], v28
	v_mul_f64 v[11:12], v[11:12], 0.5
	v_ldexp_f64 v[13:14], v[13:14], v18
	s_delay_alu instid0(VALU_DEP_3) | instskip(NEXT) | instid1(VALU_DEP_4)
	v_cndmask_b32_e64 v17, 0x7ff00000, v17, s0
	v_cndmask_b32_e64 v16, 0, v16, s0
	s_delay_alu instid0(VALU_DEP_1) | instskip(NEXT) | instid1(VALU_DEP_4)
	v_mul_f64 v[11:12], v[16:17], v[11:12]
	v_dual_cndmask_b32 v14, v14, v25 :: v_dual_cndmask_b32 v13, v13, v24
	s_delay_alu instid0(VALU_DEP_1) | instskip(NEXT) | instid1(VALU_DEP_1)
	v_div_scale_f64 v[16:17], null, v[13:14], v[13:14], v[11:12]
	v_rcp_f64_e32 v[18:19], v[16:17]
	s_waitcnt_depctr 0xfff
	v_fma_f64 v[20:21], -v[16:17], v[18:19], 1.0
	s_delay_alu instid0(VALU_DEP_1) | instskip(NEXT) | instid1(VALU_DEP_1)
	v_fma_f64 v[18:19], v[18:19], v[20:21], v[18:19]
	v_fma_f64 v[20:21], -v[16:17], v[18:19], 1.0
	s_delay_alu instid0(VALU_DEP_1) | instskip(SKIP_1) | instid1(VALU_DEP_1)
	v_fma_f64 v[18:19], v[18:19], v[20:21], v[18:19]
	v_div_scale_f64 v[20:21], vcc_lo, v[11:12], v[13:14], v[11:12]
	v_mul_f64 v[22:23], v[20:21], v[18:19]
	s_delay_alu instid0(VALU_DEP_1) | instskip(NEXT) | instid1(VALU_DEP_1)
	v_fma_f64 v[16:17], -v[16:17], v[22:23], v[20:21]
	v_div_fmas_f64 v[16:17], v[16:17], v[18:19], v[22:23]
	s_delay_alu instid0(VALU_DEP_1)
	v_div_fixup_f64 v[11:12], v[16:17], v[13:14], v[11:12]
.LBB5_46:
	s_or_b32 exec_lo, exec_lo, s11
	s_delay_alu instid0(VALU_DEP_2)
	v_frexp_mant_f64_e32 v[13:14], v[5:6]
	s_mov_b32 s13, 0x3fe55555
	s_mov_b32 s12, 0x55555555
	v_mov_b32_e32 v16, 0
	s_mov_b32 s16, 0x6b47b09a
	s_mov_b32 s18, 0xbf559e2b
	;; [unrolled: 1-line block ×4, first 2 shown]
	v_fma_f64 v[7:8], v[7:8], v[7:8], -2.0
	s_delay_alu instid0(VALU_DEP_3) | instskip(SKIP_2) | instid1(VALU_DEP_1)
	v_cmp_gt_f64_e32 vcc_lo, s[12:13], v[13:14]
	s_mov_b32 s12, 0x55555780
	v_cndmask_b32_e64 v17, 0x3ff00000, 2.0, vcc_lo
	v_mul_f64 v[13:14], v[13:14], v[16:17]
	s_delay_alu instid0(VALU_DEP_1) | instskip(SKIP_1) | instid1(VALU_DEP_2)
	v_add_f64 v[16:17], v[13:14], 1.0
	v_add_f64 v[22:23], v[13:14], -1.0
	v_rcp_f64_e32 v[18:19], v[16:17]
	v_add_f64 v[24:25], v[16:17], -1.0
	s_delay_alu instid0(VALU_DEP_1) | instskip(SKIP_2) | instid1(VALU_DEP_1)
	v_add_f64 v[13:14], v[13:14], -v[24:25]
	s_waitcnt_depctr 0xfff
	v_fma_f64 v[20:21], -v[16:17], v[18:19], 1.0
	v_fma_f64 v[18:19], v[20:21], v[18:19], v[18:19]
	s_delay_alu instid0(VALU_DEP_1) | instskip(NEXT) | instid1(VALU_DEP_1)
	v_fma_f64 v[20:21], -v[16:17], v[18:19], 1.0
	v_fma_f64 v[18:19], v[20:21], v[18:19], v[18:19]
	s_delay_alu instid0(VALU_DEP_1) | instskip(NEXT) | instid1(VALU_DEP_1)
	v_mul_f64 v[20:21], v[22:23], v[18:19]
	v_mul_f64 v[26:27], v[16:17], v[20:21]
	s_delay_alu instid0(VALU_DEP_1) | instskip(NEXT) | instid1(VALU_DEP_1)
	v_fma_f64 v[16:17], v[20:21], v[16:17], -v[26:27]
	v_fma_f64 v[13:14], v[20:21], v[13:14], v[16:17]
	s_delay_alu instid0(VALU_DEP_1) | instskip(NEXT) | instid1(VALU_DEP_1)
	v_add_f64 v[16:17], v[26:27], v[13:14]
	v_add_f64 v[24:25], v[22:23], -v[16:17]
	v_add_f64 v[26:27], v[16:17], -v[26:27]
	s_delay_alu instid0(VALU_DEP_2) | instskip(NEXT) | instid1(VALU_DEP_2)
	v_add_f64 v[22:23], v[22:23], -v[24:25]
	v_add_f64 v[13:14], v[26:27], -v[13:14]
	v_frexp_exp_i32_f64_e32 v26, v[5:6]
	s_delay_alu instid0(VALU_DEP_3) | instskip(NEXT) | instid1(VALU_DEP_1)
	v_add_f64 v[16:17], v[22:23], -v[16:17]
	v_add_f64 v[13:14], v[13:14], v[16:17]
	s_delay_alu instid0(VALU_DEP_1) | instskip(NEXT) | instid1(VALU_DEP_1)
	v_add_f64 v[13:14], v[24:25], v[13:14]
	v_mul_f64 v[13:14], v[18:19], v[13:14]
	s_delay_alu instid0(VALU_DEP_1) | instskip(NEXT) | instid1(VALU_DEP_1)
	v_add_f64 v[16:17], v[20:21], v[13:14]
	v_mul_f64 v[18:19], v[16:17], v[16:17]
	s_delay_alu instid0(VALU_DEP_1) | instskip(SKIP_3) | instid1(VALU_DEP_2)
	v_fma_f64 v[22:23], v[18:19], s[18:19], s[16:17]
	s_mov_b32 s16, 0xd7f4df2e
	s_mov_b32 s17, 0x3fc7474d
	v_mul_f64 v[24:25], v[16:17], v[18:19]
	v_fma_f64 v[22:23], v[18:19], v[22:23], s[16:17]
	s_mov_b32 s16, 0x16291751
	s_mov_b32 s17, 0x3fcc71c0
	s_delay_alu instid0(VALU_DEP_1) | instid1(SALU_CYCLE_1)
	v_fma_f64 v[22:23], v[18:19], v[22:23], s[16:17]
	s_mov_b32 s16, 0x9b27acf1
	s_mov_b32 s17, 0x3fd24924
	s_delay_alu instid0(VALU_DEP_1) | instid1(SALU_CYCLE_1)
	;; [unrolled: 4-line block ×3, first 2 shown]
	v_fma_f64 v[22:23], v[18:19], v[22:23], s[16:17]
	s_mov_b32 s17, 0x3ca3cee1
	s_mov_b32 s16, 0xe6a7fd77
	s_delay_alu instid0(VALU_DEP_1) | instskip(SKIP_4) | instid1(VALU_DEP_3)
	v_fma_f64 v[18:19], v[18:19], v[22:23], s[12:13]
	v_ldexp_f64 v[22:23], v[16:17], 1
	v_add_f64 v[16:17], v[16:17], -v[20:21]
	s_mov_b32 s12, 0xc384c2aa
	s_mov_b32 s13, 0x3d27fb0a
	v_mul_f64 v[18:19], v[24:25], v[18:19]
	v_subrev_co_ci_u32_e32 v24, vcc_lo, 0, v26, vcc_lo
	v_fma_f64 v[26:27], v[7:8], s[16:17], s[12:13]
	s_mov_b32 s12, 0xfefa39ef
	s_mov_b32 s13, 0x3fe62e42
	s_delay_alu instid0(VALU_DEP_2) | instskip(SKIP_4) | instid1(VALU_DEP_4)
	v_cvt_f64_i32_e32 v[24:25], v24
	v_add_f64 v[13:14], v[13:14], -v[16:17]
	s_mov_b32 s17, 0xbca3cee1
	v_cmp_eq_f64_e32 vcc_lo, 0x7ff00000, v[5:6]
	v_add_f64 v[20:21], v[22:23], v[18:19]
	v_mul_f64 v[28:29], v[24:25], s[12:13]
	s_delay_alu instid0(VALU_DEP_4) | instskip(NEXT) | instid1(VALU_DEP_3)
	v_ldexp_f64 v[13:14], v[13:14], 1
	v_add_f64 v[16:17], v[20:21], -v[22:23]
	v_fma_f64 v[22:23], v[7:8], v[26:27], s[16:17]
	s_delay_alu instid0(VALU_DEP_4) | instskip(SKIP_2) | instid1(VALU_DEP_3)
	v_fma_f64 v[30:31], v[24:25], s[12:13], -v[28:29]
	s_mov_b32 s12, 0x47512144
	s_mov_b32 s13, 0x3da6c25c
	v_add_f64 v[16:17], v[18:19], -v[16:17]
	s_delay_alu instid0(VALU_DEP_3)
	v_add_f64 v[18:19], v[22:23], s[12:13]
	s_mov_b32 s12, 0x3b39803f
	s_mov_b32 s13, 0x3c7abc9e
	s_delay_alu instid0(VALU_DEP_3) | instid1(SALU_CYCLE_1)
	v_fma_f64 v[22:23], v[24:25], s[12:13], v[30:31]
	s_mov_b32 s12, 0x67e58a13
	s_mov_b32 s13, 0x3e205c13
	s_delay_alu instid0(VALU_DEP_3) | instskip(NEXT) | instid1(VALU_DEP_3)
	v_add_f64 v[13:14], v[13:14], v[16:17]
	v_fma_f64 v[16:17], v[7:8], v[18:19], -v[26:27]
	s_delay_alu instid0(VALU_DEP_3) | instskip(NEXT) | instid1(VALU_DEP_3)
	v_add_f64 v[24:25], v[28:29], v[22:23]
	v_add_f64 v[26:27], v[20:21], v[13:14]
	s_delay_alu instid0(VALU_DEP_3) | instskip(SKIP_2) | instid1(VALU_DEP_3)
	v_add_f64 v[16:17], v[16:17], s[12:13]
	s_mov_b32 s12, 0xe7f95efc
	s_mov_b32 s13, 0x3e9102bc
	v_add_f64 v[28:29], v[24:25], -v[28:29]
	s_delay_alu instid0(VALU_DEP_3) | instskip(NEXT) | instid1(VALU_DEP_3)
	v_add_f64 v[30:31], v[24:25], v[26:27]
	v_fma_f64 v[18:19], v[7:8], v[16:17], -v[18:19]
	v_add_f64 v[20:21], v[26:27], -v[20:21]
	s_delay_alu instid0(VALU_DEP_4) | instskip(NEXT) | instid1(VALU_DEP_4)
	v_add_f64 v[22:23], v[22:23], -v[28:29]
	v_add_f64 v[32:33], v[30:31], -v[24:25]
	s_delay_alu instid0(VALU_DEP_4) | instskip(NEXT) | instid1(VALU_DEP_4)
	v_add_f64 v[18:19], v[18:19], s[12:13]
	v_add_f64 v[13:14], v[13:14], -v[20:21]
	s_mov_b32 s12, 0xfe8cfca0
	s_mov_b32 s13, 0x3ef7f900
	s_delay_alu instid0(VALU_DEP_3) | instskip(NEXT) | instid1(VALU_DEP_3)
	v_add_f64 v[34:35], v[30:31], -v[32:33]
	v_fma_f64 v[16:17], v[7:8], v[18:19], -v[16:17]
	v_add_f64 v[20:21], v[26:27], -v[32:33]
	s_delay_alu instid0(VALU_DEP_4) | instskip(NEXT) | instid1(VALU_DEP_4)
	v_add_f64 v[26:27], v[22:23], v[13:14]
	v_add_f64 v[24:25], v[24:25], -v[34:35]
	s_delay_alu instid0(VALU_DEP_4) | instskip(SKIP_2) | instid1(VALU_DEP_2)
	v_add_f64 v[16:17], v[16:17], s[12:13]
	s_mov_b32 s12, 0x75633d73
	s_mov_b32 s13, 0x3f54b82e
	v_add_f64 v[20:21], v[20:21], v[24:25]
	s_delay_alu instid0(VALU_DEP_2) | instskip(SKIP_1) | instid1(VALU_DEP_3)
	v_fma_f64 v[18:19], v[7:8], v[16:17], -v[18:19]
	v_add_f64 v[24:25], v[26:27], -v[22:23]
	v_add_f64 v[20:21], v[26:27], v[20:21]
	s_delay_alu instid0(VALU_DEP_3) | instskip(NEXT) | instid1(VALU_DEP_3)
	v_add_f64 v[18:19], v[18:19], s[12:13]
	v_add_f64 v[26:27], v[26:27], -v[24:25]
	v_add_f64 v[13:14], v[13:14], -v[24:25]
	s_mov_b32 s12, 0x554a9085
	s_mov_b32 s13, 0x3fa26bf6
	s_delay_alu instid0(VALU_DEP_4) | instskip(NEXT) | instid1(VALU_DEP_4)
	v_add_f64 v[28:29], v[30:31], v[20:21]
	v_fma_f64 v[16:17], v[7:8], v[18:19], -v[16:17]
	s_delay_alu instid0(VALU_DEP_4) | instskip(NEXT) | instid1(VALU_DEP_3)
	v_add_f64 v[22:23], v[22:23], -v[26:27]
	v_add_f64 v[24:25], v[28:29], -v[30:31]
	s_delay_alu instid0(VALU_DEP_3) | instskip(NEXT) | instid1(VALU_DEP_3)
	v_add_f64 v[16:17], v[16:17], s[12:13]
	v_add_f64 v[13:14], v[13:14], v[22:23]
	s_mov_b32 s12, 0x81213db9
	s_mov_b32 s13, 0x3fd608d8
	s_delay_alu instid0(VALU_DEP_3) | instskip(NEXT) | instid1(VALU_DEP_3)
	v_add_f64 v[20:21], v[20:21], -v[24:25]
	v_fma_f64 v[18:19], v[7:8], v[16:17], -v[18:19]
	s_delay_alu instid0(VALU_DEP_2) | instskip(NEXT) | instid1(VALU_DEP_2)
	v_add_f64 v[13:14], v[13:14], v[20:21]
	v_add_f64 v[18:19], v[18:19], s[12:13]
	s_mov_b32 s12, 0xe9d2f61f
	s_mov_b32 s13, 0xbfe12166
	s_delay_alu instid0(VALU_DEP_2) | instskip(NEXT) | instid1(VALU_DEP_2)
	v_add_f64 v[13:14], v[28:29], v[13:14]
	v_fma_f64 v[7:8], v[7:8], v[18:19], -v[16:17]
	s_delay_alu instid0(VALU_DEP_2) | instskip(SKIP_1) | instid1(VALU_DEP_3)
	v_dual_cndmask_b32 v13, v13, v5 :: v_dual_cndmask_b32 v14, v14, v6
	v_cmp_neq_f64_e32 vcc_lo, 0, v[5:6]
	v_add_f64 v[5:6], v[7:8], s[12:13]
	s_delay_alu instid0(VALU_DEP_3) | instskip(NEXT) | instid1(VALU_DEP_4)
	v_cndmask_b32_e32 v7, 0, v13, vcc_lo
	v_cndmask_b32_e32 v8, 0xfff00000, v14, vcc_lo
	s_delay_alu instid0(VALU_DEP_3) | instskip(NEXT) | instid1(VALU_DEP_2)
	v_add_f64 v[5:6], v[5:6], -v[16:17]
	v_mul_f64 v[7:8], v[7:8], v[11:12]
	s_delay_alu instid0(VALU_DEP_1)
	v_fma_f64 v[11:12], v[5:6], 0.5, -v[7:8]
                                        ; implicit-def: $vgpr7_vgpr8
.LBB5_47:
	s_and_not1_saveexec_b32 s10, s10
	s_cbranch_execz .LBB5_49
; %bb.48:
	v_div_scale_f64 v[5:6], null, v[7:8], v[7:8], 0x40200000
	v_div_scale_f64 v[16:17], vcc_lo, 0x40200000, v[7:8], 0x40200000
	s_mov_b32 s12, 0x93812603
	s_mov_b32 s13, 0xbc72fecc
	;; [unrolled: 1-line block ×4, first 2 shown]
	v_cmp_nlt_f64_e64 s0, 0x4090cc00, v[7:8]
	s_delay_alu instid0(VALU_DEP_3) | instskip(SKIP_2) | instid1(VALU_DEP_1)
	v_rcp_f64_e32 v[11:12], v[5:6]
	s_waitcnt_depctr 0xfff
	v_fma_f64 v[13:14], -v[5:6], v[11:12], 1.0
	v_fma_f64 v[11:12], v[11:12], v[13:14], v[11:12]
	s_delay_alu instid0(VALU_DEP_1) | instskip(NEXT) | instid1(VALU_DEP_1)
	v_fma_f64 v[13:14], -v[5:6], v[11:12], 1.0
	v_fma_f64 v[11:12], v[11:12], v[13:14], v[11:12]
	s_delay_alu instid0(VALU_DEP_1) | instskip(NEXT) | instid1(VALU_DEP_1)
	v_mul_f64 v[13:14], v[16:17], v[11:12]
	v_fma_f64 v[5:6], -v[5:6], v[13:14], v[16:17]
	s_delay_alu instid0(VALU_DEP_1) | instskip(SKIP_1) | instid1(VALU_DEP_2)
	v_div_fmas_f64 v[5:6], v[5:6], v[11:12], v[13:14]
	v_cmp_gt_f64_e32 vcc_lo, 0x10000000, v[7:8]
	v_div_fixup_f64 v[5:6], v[5:6], v[7:8], 0x40200000
	v_cndmask_b32_e64 v22, 0, 1, vcc_lo
	s_delay_alu instid0(VALU_DEP_1) | instskip(NEXT) | instid1(VALU_DEP_1)
	v_lshlrev_b32_e32 v22, 8, v22
	v_ldexp_f64 v[22:23], v[7:8], v22
	s_delay_alu instid0(VALU_DEP_4) | instskip(NEXT) | instid1(VALU_DEP_2)
	v_add_f64 v[5:6], v[5:6], -2.0
	v_rsq_f64_e32 v[24:25], v[22:23]
	s_delay_alu instid0(VALU_DEP_1)
	v_fma_f64 v[11:12], v[5:6], s[16:17], s[12:13]
	s_mov_b32 s17, 0xbc5871a5
	s_mov_b32 s12, 0x41a8cdf4
	;; [unrolled: 1-line block ×3, first 2 shown]
	s_waitcnt_depctr 0xfff
	v_mul_f64 v[26:27], v[22:23], v[24:25]
	v_mul_f64 v[24:25], v[24:25], 0.5
	v_fma_f64 v[13:14], v[5:6], v[11:12], s[16:17]
	s_mov_b32 s16, 0x6a5dcb37
	s_mov_b32 s17, 0x3e5ade15
	s_delay_alu instid0(VALU_DEP_2) | instskip(NEXT) | instid1(VALU_DEP_2)
	v_fma_f64 v[28:29], -v[24:25], v[26:27], 0.5
	v_add_f64 v[13:14], v[13:14], s[12:13]
	s_mov_b32 s12, 0x74d77641
	s_mov_b32 s13, 0xbca82f94
	s_delay_alu instid0(VALU_DEP_2) | instskip(SKIP_1) | instid1(VALU_DEP_3)
	v_fma_f64 v[26:27], v[26:27], v[28:29], v[26:27]
	v_fma_f64 v[24:25], v[24:25], v[28:29], v[24:25]
	v_fma_f64 v[11:12], v[5:6], v[13:14], -v[11:12]
	s_delay_alu instid0(VALU_DEP_3) | instskip(NEXT) | instid1(VALU_DEP_2)
	v_fma_f64 v[28:29], -v[26:27], v[26:27], v[22:23]
	v_add_f64 v[11:12], v[11:12], s[12:13]
	s_mov_b32 s12, 0x6b94785b
	s_mov_b32 s13, 0x3cc3dbf9
	s_delay_alu instid0(VALU_DEP_1) | instskip(NEXT) | instid1(VALU_DEP_1)
	v_fma_f64 v[13:14], v[5:6], v[11:12], -v[13:14]
	v_add_f64 v[13:14], v[13:14], s[12:13]
	s_mov_b32 s12, 0xecfadd36
	s_mov_b32 s13, 0xbce0a690
	s_delay_alu instid0(VALU_DEP_1) | instskip(NEXT) | instid1(VALU_DEP_1)
	v_fma_f64 v[11:12], v[5:6], v[13:14], -v[11:12]
	;; [unrolled: 5-line block ×14, first 2 shown]
	v_add_f64 v[11:12], v[11:12], s[12:13]
	s_mov_b32 s12, 0x652b82fe
	s_mov_b32 s13, 0xbff71547
	s_delay_alu instid0(SALU_CYCLE_1) | instskip(SKIP_2) | instid1(VALU_DEP_2)
	v_mul_f64 v[16:17], v[7:8], s[12:13]
	s_mov_b32 s12, 0x81e3e46f
	s_mov_b32 s13, 0x3e929159
	v_fma_f64 v[13:14], v[5:6], v[11:12], -v[13:14]
	s_delay_alu instid0(VALU_DEP_2) | instskip(NEXT) | instid1(VALU_DEP_2)
	v_rndne_f64_e32 v[16:17], v[16:17]
	v_add_f64 v[13:14], v[13:14], s[12:13]
	s_mov_b32 s12, 0xfefa39ef
	s_mov_b32 s13, 0xbfe62e42
	s_delay_alu instid0(VALU_DEP_2) | instid1(SALU_CYCLE_1)
	v_fma_f64 v[18:19], v[16:17], s[12:13], -v[7:8]
	s_mov_b32 s12, 0x3b39803f
	s_mov_b32 s13, 0xbc7abc9e
	v_cndmask_b32_e64 v7, 0, 0xffffff80, vcc_lo
	v_cmp_class_f64_e64 vcc_lo, v[22:23], 0x260
	s_delay_alu instid0(VALU_DEP_4) | instskip(NEXT) | instid1(VALU_DEP_4)
	v_fma_f64 v[11:12], v[5:6], v[13:14], -v[11:12]
	v_fma_f64 v[18:19], v[16:17], s[12:13], v[18:19]
	s_mov_b32 s12, 0x7f18d3a9
	s_mov_b32 s13, 0xbebebb54
	s_delay_alu instid0(VALU_DEP_2) | instid1(SALU_CYCLE_1)
	v_add_f64 v[11:12], v[11:12], s[12:13]
	s_mov_b32 s12, 0xfca7ab0c
	s_mov_b32 s13, 0x3e928af3
	s_delay_alu instid0(VALU_DEP_2) | instid1(SALU_CYCLE_1)
	v_fma_f64 v[20:21], v[18:19], s[16:17], s[12:13]
	s_mov_b32 s12, 0x623fde64
	s_mov_b32 s13, 0x3ec71dee
	s_delay_alu instid0(VALU_DEP_2) | instskip(NEXT) | instid1(VALU_DEP_2)
	v_fma_f64 v[13:14], v[5:6], v[11:12], -v[13:14]
	v_fma_f64 v[20:21], v[18:19], v[20:21], s[12:13]
	s_mov_b32 s12, 0xcc7470a9
	s_mov_b32 s13, 0x3eed413f
	s_delay_alu instid0(VALU_DEP_2) | instid1(SALU_CYCLE_1)
	v_add_f64 v[13:14], v[13:14], s[12:13]
	s_mov_b32 s12, 0x7c89e6b0
	s_mov_b32 s13, 0x3efa0199
	s_delay_alu instid0(VALU_DEP_2) | instid1(SALU_CYCLE_1)
	v_fma_f64 v[20:21], v[18:19], v[20:21], s[12:13]
	s_mov_b32 s12, 0x14761f6e
	s_mov_b32 s13, 0x3f2a01a0
	s_delay_alu instid0(VALU_DEP_2) | instskip(NEXT) | instid1(VALU_DEP_2)
	;; [unrolled: 13-line block ×4, first 2 shown]
	v_fma_f64 v[11:12], v[5:6], v[13:14], -v[11:12]
	v_fma_f64 v[20:21], v[18:19], v[20:21], s[12:13]
	s_mov_b32 s12, 0x2d4ff71e
	s_mov_b32 s13, 0xbfa019f7
	s_delay_alu instid0(VALU_DEP_2) | instid1(SALU_CYCLE_1)
	v_add_f64 v[11:12], v[11:12], s[12:13]
	s_mov_b32 s12, 11
	s_mov_b32 s13, 0x3fe00000
	s_delay_alu instid0(VALU_DEP_2) | instid1(SALU_CYCLE_1)
	v_fma_f64 v[20:21], v[18:19], v[20:21], s[12:13]
	s_mov_b32 s12, 0x9f4e6907
	s_mov_b32 s13, 0x400385bd
	s_delay_alu instid0(VALU_DEP_2) | instskip(SKIP_2) | instid1(VALU_DEP_4)
	v_fma_f64 v[5:6], v[5:6], v[11:12], -v[13:14]
	v_fma_f64 v[11:12], v[28:29], v[24:25], v[26:27]
	v_cvt_i32_f64_e32 v26, v[16:17]
	v_fma_f64 v[20:21], v[18:19], v[20:21], 1.0
	s_delay_alu instid0(VALU_DEP_4) | instskip(NEXT) | instid1(VALU_DEP_4)
	v_add_f64 v[5:6], v[5:6], s[12:13]
	v_fma_f64 v[16:17], -v[11:12], v[11:12], v[22:23]
	s_delay_alu instid0(VALU_DEP_3) | instskip(NEXT) | instid1(VALU_DEP_3)
	v_fma_f64 v[18:19], v[18:19], v[20:21], 1.0
	v_add_f64 v[5:6], v[5:6], -v[13:14]
	s_delay_alu instid0(VALU_DEP_3) | instskip(NEXT) | instid1(VALU_DEP_3)
	v_fma_f64 v[11:12], v[16:17], v[24:25], v[11:12]
	v_ldexp_f64 v[13:14], v[18:19], v26
	s_delay_alu instid0(VALU_DEP_3) | instskip(NEXT) | instid1(VALU_DEP_3)
	v_mul_f64 v[5:6], v[5:6], 0.5
	v_ldexp_f64 v[7:8], v[11:12], v7
	s_delay_alu instid0(VALU_DEP_3) | instskip(NEXT) | instid1(VALU_DEP_4)
	v_cndmask_b32_e64 v12, 0, v14, s0
	v_cndmask_b32_e64 v11, 0, v13, s0
	s_delay_alu instid0(VALU_DEP_1) | instskip(NEXT) | instid1(VALU_DEP_4)
	v_mul_f64 v[5:6], v[11:12], v[5:6]
	v_dual_cndmask_b32 v8, v8, v23 :: v_dual_cndmask_b32 v7, v7, v22
	s_delay_alu instid0(VALU_DEP_1) | instskip(NEXT) | instid1(VALU_DEP_1)
	v_div_scale_f64 v[11:12], null, v[7:8], v[7:8], v[5:6]
	v_rcp_f64_e32 v[13:14], v[11:12]
	s_waitcnt_depctr 0xfff
	v_fma_f64 v[16:17], -v[11:12], v[13:14], 1.0
	s_delay_alu instid0(VALU_DEP_1) | instskip(NEXT) | instid1(VALU_DEP_1)
	v_fma_f64 v[13:14], v[13:14], v[16:17], v[13:14]
	v_fma_f64 v[16:17], -v[11:12], v[13:14], 1.0
	s_delay_alu instid0(VALU_DEP_1) | instskip(SKIP_1) | instid1(VALU_DEP_1)
	v_fma_f64 v[13:14], v[13:14], v[16:17], v[13:14]
	v_div_scale_f64 v[16:17], vcc_lo, v[5:6], v[7:8], v[5:6]
	v_mul_f64 v[18:19], v[16:17], v[13:14]
	s_delay_alu instid0(VALU_DEP_1) | instskip(NEXT) | instid1(VALU_DEP_1)
	v_fma_f64 v[11:12], -v[11:12], v[18:19], v[16:17]
	v_div_fmas_f64 v[11:12], v[11:12], v[13:14], v[18:19]
	s_delay_alu instid0(VALU_DEP_1)
	v_div_fixup_f64 v[11:12], v[11:12], v[7:8], v[5:6]
.LBB5_49:
	s_or_b32 exec_lo, exec_lo, s10
.LBB5_50:
	s_delay_alu instid0(SALU_CYCLE_1)
	s_or_b32 exec_lo, exec_lo, s9
.LBB5_51:
	s_delay_alu instid0(SALU_CYCLE_1) | instskip(SKIP_3) | instid1(VALU_DEP_1)
	s_or_b32 exec_lo, exec_lo, s1
	s_add_u32 s2, s4, s2
	s_addc_u32 s3, s5, s3
	v_add_co_u32 v5, s0, s2, v15
	v_add_co_ci_u32_e64 v6, null, s3, 0, s0
	s_delay_alu instid0(VALU_DEP_2) | instskip(NEXT) | instid1(VALU_DEP_2)
	v_add_co_u32 v5, vcc_lo, 0x1000, v5
	v_add_co_ci_u32_e32 v6, vcc_lo, 0, v6, vcc_lo
	s_clause 0x1
	global_store_b128 v15, v[1:4], s[2:3]
	global_store_b128 v[5:6], v[9:12], off
	s_branch .LBB5_2
.LBB5_52:
	v_dual_mov_b32 v31, v0 :: v_dual_mov_b32 v0, s4
	v_dual_mov_b32 v1, s5 :: v_dual_mov_b32 v2, s6
	;; [unrolled: 1-line block ×3, first 2 shown]
	s_mov_b32 s12, s15
	s_getpc_b64 s[0:1]
	s_add_u32 s0, s0, _ZN2at6native25elementwise_kernel_helperILb0EZZZNS0_12_GLOBAL__N_130modified_bessel_k0_kernel_cudaERNS_18TensorIteratorBaseEENKUlvE_clEvENKUlvE_clEvEUldE_NS0_6memory8policies11unroll_baseILi256ESt5arrayIPcLm2EE23TrivialOffsetCalculatorILi1EjESF_NS8_15LoadWithoutCastENS8_16StoreWithoutCastELi4ELi1EEEEEvT0_T1_@rel32@lo+4
	s_addc_u32 s1, s1, _ZN2at6native25elementwise_kernel_helperILb0EZZZNS0_12_GLOBAL__N_130modified_bessel_k0_kernel_cudaERNS_18TensorIteratorBaseEENKUlvE_clEvENKUlvE_clEvEUldE_NS0_6memory8policies11unroll_baseILi256ESt5arrayIPcLm2EE23TrivialOffsetCalculatorILi1EjESF_NS8_15LoadWithoutCastENS8_16StoreWithoutCastELi4ELi1EEEEEvT0_T1_@rel32@hi+12
	s_delay_alu instid0(SALU_CYCLE_1)
	s_swappc_b64 s[30:31], s[0:1]
	s_endpgm
	.section	.rodata,"a",@progbits
	.p2align	6, 0x0
	.amdhsa_kernel _ZN2at6native29vectorized_elementwise_kernelILi2EZZZNS0_12_GLOBAL__N_130modified_bessel_k0_kernel_cudaERNS_18TensorIteratorBaseEENKUlvE_clEvENKUlvE_clEvEUldE_St5arrayIPcLm2EEEEviT0_T1_
		.amdhsa_group_segment_fixed_size 0
		.amdhsa_private_segment_fixed_size 0
		.amdhsa_kernarg_size 24
		.amdhsa_user_sgpr_count 15
		.amdhsa_user_sgpr_dispatch_ptr 0
		.amdhsa_user_sgpr_queue_ptr 0
		.amdhsa_user_sgpr_kernarg_segment_ptr 1
		.amdhsa_user_sgpr_dispatch_id 0
		.amdhsa_user_sgpr_private_segment_size 0
		.amdhsa_wavefront_size32 1
		.amdhsa_uses_dynamic_stack 0
		.amdhsa_enable_private_segment 0
		.amdhsa_system_sgpr_workgroup_id_x 1
		.amdhsa_system_sgpr_workgroup_id_y 0
		.amdhsa_system_sgpr_workgroup_id_z 0
		.amdhsa_system_sgpr_workgroup_info 0
		.amdhsa_system_vgpr_workitem_id 0
		.amdhsa_next_free_vgpr 52
		.amdhsa_next_free_sgpr 33
		.amdhsa_reserve_vcc 1
		.amdhsa_float_round_mode_32 0
		.amdhsa_float_round_mode_16_64 0
		.amdhsa_float_denorm_mode_32 3
		.amdhsa_float_denorm_mode_16_64 3
		.amdhsa_dx10_clamp 1
		.amdhsa_ieee_mode 1
		.amdhsa_fp16_overflow 0
		.amdhsa_workgroup_processor_mode 1
		.amdhsa_memory_ordered 1
		.amdhsa_forward_progress 0
		.amdhsa_shared_vgpr_count 0
		.amdhsa_exception_fp_ieee_invalid_op 0
		.amdhsa_exception_fp_denorm_src 0
		.amdhsa_exception_fp_ieee_div_zero 0
		.amdhsa_exception_fp_ieee_overflow 0
		.amdhsa_exception_fp_ieee_underflow 0
		.amdhsa_exception_fp_ieee_inexact 0
		.amdhsa_exception_int_div_zero 0
	.end_amdhsa_kernel
	.section	.text._ZN2at6native29vectorized_elementwise_kernelILi2EZZZNS0_12_GLOBAL__N_130modified_bessel_k0_kernel_cudaERNS_18TensorIteratorBaseEENKUlvE_clEvENKUlvE_clEvEUldE_St5arrayIPcLm2EEEEviT0_T1_,"axG",@progbits,_ZN2at6native29vectorized_elementwise_kernelILi2EZZZNS0_12_GLOBAL__N_130modified_bessel_k0_kernel_cudaERNS_18TensorIteratorBaseEENKUlvE_clEvENKUlvE_clEvEUldE_St5arrayIPcLm2EEEEviT0_T1_,comdat
.Lfunc_end5:
	.size	_ZN2at6native29vectorized_elementwise_kernelILi2EZZZNS0_12_GLOBAL__N_130modified_bessel_k0_kernel_cudaERNS_18TensorIteratorBaseEENKUlvE_clEvENKUlvE_clEvEUldE_St5arrayIPcLm2EEEEviT0_T1_, .Lfunc_end5-_ZN2at6native29vectorized_elementwise_kernelILi2EZZZNS0_12_GLOBAL__N_130modified_bessel_k0_kernel_cudaERNS_18TensorIteratorBaseEENKUlvE_clEvENKUlvE_clEvEUldE_St5arrayIPcLm2EEEEviT0_T1_
                                        ; -- End function
	.section	.AMDGPU.csdata,"",@progbits
; Kernel info:
; codeLenInByte = 25764
; NumSgprs: 35
; NumVgprs: 52
; ScratchSize: 0
; MemoryBound: 0
; FloatMode: 240
; IeeeMode: 1
; LDSByteSize: 0 bytes/workgroup (compile time only)
; SGPRBlocks: 4
; VGPRBlocks: 6
; NumSGPRsForWavesPerEU: 35
; NumVGPRsForWavesPerEU: 52
; Occupancy: 16
; WaveLimiterHint : 1
; COMPUTE_PGM_RSRC2:SCRATCH_EN: 0
; COMPUTE_PGM_RSRC2:USER_SGPR: 15
; COMPUTE_PGM_RSRC2:TRAP_HANDLER: 0
; COMPUTE_PGM_RSRC2:TGID_X_EN: 1
; COMPUTE_PGM_RSRC2:TGID_Y_EN: 0
; COMPUTE_PGM_RSRC2:TGID_Z_EN: 0
; COMPUTE_PGM_RSRC2:TIDIG_COMP_CNT: 0
	.section	.text._ZN2at6native27unrolled_elementwise_kernelIZZZNS0_12_GLOBAL__N_130modified_bessel_k0_kernel_cudaERNS_18TensorIteratorBaseEENKUlvE_clEvENKUlvE_clEvEUldE_St5arrayIPcLm2EELi4E23TrivialOffsetCalculatorILi1EjESC_NS0_6memory15LoadWithoutCastENSD_16StoreWithoutCastEEEviT_T0_T2_T3_T4_T5_,"axG",@progbits,_ZN2at6native27unrolled_elementwise_kernelIZZZNS0_12_GLOBAL__N_130modified_bessel_k0_kernel_cudaERNS_18TensorIteratorBaseEENKUlvE_clEvENKUlvE_clEvEUldE_St5arrayIPcLm2EELi4E23TrivialOffsetCalculatorILi1EjESC_NS0_6memory15LoadWithoutCastENSD_16StoreWithoutCastEEEviT_T0_T2_T3_T4_T5_,comdat
	.globl	_ZN2at6native27unrolled_elementwise_kernelIZZZNS0_12_GLOBAL__N_130modified_bessel_k0_kernel_cudaERNS_18TensorIteratorBaseEENKUlvE_clEvENKUlvE_clEvEUldE_St5arrayIPcLm2EELi4E23TrivialOffsetCalculatorILi1EjESC_NS0_6memory15LoadWithoutCastENSD_16StoreWithoutCastEEEviT_T0_T2_T3_T4_T5_ ; -- Begin function _ZN2at6native27unrolled_elementwise_kernelIZZZNS0_12_GLOBAL__N_130modified_bessel_k0_kernel_cudaERNS_18TensorIteratorBaseEENKUlvE_clEvENKUlvE_clEvEUldE_St5arrayIPcLm2EELi4E23TrivialOffsetCalculatorILi1EjESC_NS0_6memory15LoadWithoutCastENSD_16StoreWithoutCastEEEviT_T0_T2_T3_T4_T5_
	.p2align	8
	.type	_ZN2at6native27unrolled_elementwise_kernelIZZZNS0_12_GLOBAL__N_130modified_bessel_k0_kernel_cudaERNS_18TensorIteratorBaseEENKUlvE_clEvENKUlvE_clEvEUldE_St5arrayIPcLm2EELi4E23TrivialOffsetCalculatorILi1EjESC_NS0_6memory15LoadWithoutCastENSD_16StoreWithoutCastEEEviT_T0_T2_T3_T4_T5_,@function
_ZN2at6native27unrolled_elementwise_kernelIZZZNS0_12_GLOBAL__N_130modified_bessel_k0_kernel_cudaERNS_18TensorIteratorBaseEENKUlvE_clEvENKUlvE_clEvEUldE_St5arrayIPcLm2EELi4E23TrivialOffsetCalculatorILi1EjESC_NS0_6memory15LoadWithoutCastENSD_16StoreWithoutCastEEEviT_T0_T2_T3_T4_T5_: ; @_ZN2at6native27unrolled_elementwise_kernelIZZZNS0_12_GLOBAL__N_130modified_bessel_k0_kernel_cudaERNS_18TensorIteratorBaseEENKUlvE_clEvENKUlvE_clEvEUldE_St5arrayIPcLm2EELi4E23TrivialOffsetCalculatorILi1EjESC_NS0_6memory15LoadWithoutCastENSD_16StoreWithoutCastEEEviT_T0_T2_T3_T4_T5_
; %bb.0:
	s_clause 0x1
	s_load_b32 s6, s[0:1], 0x0
	s_load_b128 s[0:3], s[0:1], 0x8
	s_lshl_b32 s7, s15, 10
	s_getpc_b64 s[4:5]
	s_add_u32 s4, s4, _ZN2at6native25elementwise_kernel_helperILb0EZZZNS0_12_GLOBAL__N_130modified_bessel_k0_kernel_cudaERNS_18TensorIteratorBaseEENKUlvE_clEvENKUlvE_clEvEUldE_NS0_6memory8policies11unroll_baseILi256ESt5arrayIPcLm2EE23TrivialOffsetCalculatorILi1EjESF_NS8_15LoadWithoutCastENS8_16StoreWithoutCastELi4ELi1EEEEEvT0_T1_@rel32@lo+4
	s_addc_u32 s5, s5, _ZN2at6native25elementwise_kernel_helperILb0EZZZNS0_12_GLOBAL__N_130modified_bessel_k0_kernel_cudaERNS_18TensorIteratorBaseEENKUlvE_clEvENKUlvE_clEvEUldE_NS0_6memory8policies11unroll_baseILi256ESt5arrayIPcLm2EE23TrivialOffsetCalculatorILi1EjESF_NS8_15LoadWithoutCastENS8_16StoreWithoutCastELi4ELi1EEEEEvT0_T1_@rel32@hi+12
	v_mov_b32_e32 v31, v0
	s_mov_b32 s12, s15
	s_mov_b32 s32, 0
	s_waitcnt lgkmcnt(0)
	s_sub_i32 s6, s6, s7
	v_dual_mov_b32 v0, s0 :: v_dual_mov_b32 v1, s1
	v_dual_mov_b32 v2, s2 :: v_dual_mov_b32 v3, s3
	v_mov_b32_e32 v4, s6
	s_swappc_b64 s[30:31], s[4:5]
	s_endpgm
	.section	.rodata,"a",@progbits
	.p2align	6, 0x0
	.amdhsa_kernel _ZN2at6native27unrolled_elementwise_kernelIZZZNS0_12_GLOBAL__N_130modified_bessel_k0_kernel_cudaERNS_18TensorIteratorBaseEENKUlvE_clEvENKUlvE_clEvEUldE_St5arrayIPcLm2EELi4E23TrivialOffsetCalculatorILi1EjESC_NS0_6memory15LoadWithoutCastENSD_16StoreWithoutCastEEEviT_T0_T2_T3_T4_T5_
		.amdhsa_group_segment_fixed_size 0
		.amdhsa_private_segment_fixed_size 0
		.amdhsa_kernarg_size 28
		.amdhsa_user_sgpr_count 15
		.amdhsa_user_sgpr_dispatch_ptr 0
		.amdhsa_user_sgpr_queue_ptr 0
		.amdhsa_user_sgpr_kernarg_segment_ptr 1
		.amdhsa_user_sgpr_dispatch_id 0
		.amdhsa_user_sgpr_private_segment_size 0
		.amdhsa_wavefront_size32 1
		.amdhsa_uses_dynamic_stack 0
		.amdhsa_enable_private_segment 0
		.amdhsa_system_sgpr_workgroup_id_x 1
		.amdhsa_system_sgpr_workgroup_id_y 0
		.amdhsa_system_sgpr_workgroup_id_z 0
		.amdhsa_system_sgpr_workgroup_info 0
		.amdhsa_system_vgpr_workitem_id 0
		.amdhsa_next_free_vgpr 52
		.amdhsa_next_free_sgpr 33
		.amdhsa_reserve_vcc 1
		.amdhsa_float_round_mode_32 0
		.amdhsa_float_round_mode_16_64 0
		.amdhsa_float_denorm_mode_32 3
		.amdhsa_float_denorm_mode_16_64 3
		.amdhsa_dx10_clamp 1
		.amdhsa_ieee_mode 1
		.amdhsa_fp16_overflow 0
		.amdhsa_workgroup_processor_mode 1
		.amdhsa_memory_ordered 1
		.amdhsa_forward_progress 0
		.amdhsa_shared_vgpr_count 0
		.amdhsa_exception_fp_ieee_invalid_op 0
		.amdhsa_exception_fp_denorm_src 0
		.amdhsa_exception_fp_ieee_div_zero 0
		.amdhsa_exception_fp_ieee_overflow 0
		.amdhsa_exception_fp_ieee_underflow 0
		.amdhsa_exception_fp_ieee_inexact 0
		.amdhsa_exception_int_div_zero 0
	.end_amdhsa_kernel
	.section	.text._ZN2at6native27unrolled_elementwise_kernelIZZZNS0_12_GLOBAL__N_130modified_bessel_k0_kernel_cudaERNS_18TensorIteratorBaseEENKUlvE_clEvENKUlvE_clEvEUldE_St5arrayIPcLm2EELi4E23TrivialOffsetCalculatorILi1EjESC_NS0_6memory15LoadWithoutCastENSD_16StoreWithoutCastEEEviT_T0_T2_T3_T4_T5_,"axG",@progbits,_ZN2at6native27unrolled_elementwise_kernelIZZZNS0_12_GLOBAL__N_130modified_bessel_k0_kernel_cudaERNS_18TensorIteratorBaseEENKUlvE_clEvENKUlvE_clEvEUldE_St5arrayIPcLm2EELi4E23TrivialOffsetCalculatorILi1EjESC_NS0_6memory15LoadWithoutCastENSD_16StoreWithoutCastEEEviT_T0_T2_T3_T4_T5_,comdat
.Lfunc_end6:
	.size	_ZN2at6native27unrolled_elementwise_kernelIZZZNS0_12_GLOBAL__N_130modified_bessel_k0_kernel_cudaERNS_18TensorIteratorBaseEENKUlvE_clEvENKUlvE_clEvEUldE_St5arrayIPcLm2EELi4E23TrivialOffsetCalculatorILi1EjESC_NS0_6memory15LoadWithoutCastENSD_16StoreWithoutCastEEEviT_T0_T2_T3_T4_T5_, .Lfunc_end6-_ZN2at6native27unrolled_elementwise_kernelIZZZNS0_12_GLOBAL__N_130modified_bessel_k0_kernel_cudaERNS_18TensorIteratorBaseEENKUlvE_clEvENKUlvE_clEvEUldE_St5arrayIPcLm2EELi4E23TrivialOffsetCalculatorILi1EjESC_NS0_6memory15LoadWithoutCastENSD_16StoreWithoutCastEEEviT_T0_T2_T3_T4_T5_
                                        ; -- End function
	.section	.AMDGPU.csdata,"",@progbits
; Kernel info:
; codeLenInByte = 92
; NumSgprs: 35
; NumVgprs: 52
; ScratchSize: 0
; MemoryBound: 0
; FloatMode: 240
; IeeeMode: 1
; LDSByteSize: 0 bytes/workgroup (compile time only)
; SGPRBlocks: 4
; VGPRBlocks: 6
; NumSGPRsForWavesPerEU: 35
; NumVGPRsForWavesPerEU: 52
; Occupancy: 16
; WaveLimiterHint : 0
; COMPUTE_PGM_RSRC2:SCRATCH_EN: 0
; COMPUTE_PGM_RSRC2:USER_SGPR: 15
; COMPUTE_PGM_RSRC2:TRAP_HANDLER: 0
; COMPUTE_PGM_RSRC2:TGID_X_EN: 1
; COMPUTE_PGM_RSRC2:TGID_Y_EN: 0
; COMPUTE_PGM_RSRC2:TGID_Z_EN: 0
; COMPUTE_PGM_RSRC2:TIDIG_COMP_CNT: 0
	.section	.text._ZN2at6native32elementwise_kernel_manual_unrollILi128ELi4EZNS0_22gpu_kernel_impl_nocastIZZZNS0_12_GLOBAL__N_130modified_bessel_k0_kernel_cudaERNS_18TensorIteratorBaseEENKUlvE_clEvENKUlvE_clEvEUldE_EEvS5_RKT_EUlibE_EEviT1_,"axG",@progbits,_ZN2at6native32elementwise_kernel_manual_unrollILi128ELi4EZNS0_22gpu_kernel_impl_nocastIZZZNS0_12_GLOBAL__N_130modified_bessel_k0_kernel_cudaERNS_18TensorIteratorBaseEENKUlvE_clEvENKUlvE_clEvEUldE_EEvS5_RKT_EUlibE_EEviT1_,comdat
	.globl	_ZN2at6native32elementwise_kernel_manual_unrollILi128ELi4EZNS0_22gpu_kernel_impl_nocastIZZZNS0_12_GLOBAL__N_130modified_bessel_k0_kernel_cudaERNS_18TensorIteratorBaseEENKUlvE_clEvENKUlvE_clEvEUldE_EEvS5_RKT_EUlibE_EEviT1_ ; -- Begin function _ZN2at6native32elementwise_kernel_manual_unrollILi128ELi4EZNS0_22gpu_kernel_impl_nocastIZZZNS0_12_GLOBAL__N_130modified_bessel_k0_kernel_cudaERNS_18TensorIteratorBaseEENKUlvE_clEvENKUlvE_clEvEUldE_EEvS5_RKT_EUlibE_EEviT1_
	.p2align	8
	.type	_ZN2at6native32elementwise_kernel_manual_unrollILi128ELi4EZNS0_22gpu_kernel_impl_nocastIZZZNS0_12_GLOBAL__N_130modified_bessel_k0_kernel_cudaERNS_18TensorIteratorBaseEENKUlvE_clEvENKUlvE_clEvEUldE_EEvS5_RKT_EUlibE_EEviT1_,@function
_ZN2at6native32elementwise_kernel_manual_unrollILi128ELi4EZNS0_22gpu_kernel_impl_nocastIZZZNS0_12_GLOBAL__N_130modified_bessel_k0_kernel_cudaERNS_18TensorIteratorBaseEENKUlvE_clEvENKUlvE_clEvEUldE_EEvS5_RKT_EUlibE_EEviT1_: ; @_ZN2at6native32elementwise_kernel_manual_unrollILi128ELi4EZNS0_22gpu_kernel_impl_nocastIZZZNS0_12_GLOBAL__N_130modified_bessel_k0_kernel_cudaERNS_18TensorIteratorBaseEENKUlvE_clEvENKUlvE_clEvEUldE_EEvS5_RKT_EUlibE_EEviT1_
; %bb.0:
	s_clause 0x1
	s_load_b32 s22, s[0:1], 0x8
	s_load_b32 s27, s[0:1], 0x0
	v_lshl_or_b32 v7, s15, 9, v0
	s_or_b32 s0, s0, 8
	s_mov_b32 s2, exec_lo
	s_delay_alu instid0(VALU_DEP_1) | instskip(SKIP_2) | instid1(SALU_CYCLE_1)
	v_or_b32_e32 v6, 0x180, v7
	s_waitcnt lgkmcnt(0)
	s_add_i32 s23, s22, -1
	s_cmp_gt_u32 s23, 1
	s_cselect_b32 s24, -1, 0
	v_cmpx_le_i32_e64 s27, v6
	s_xor_b32 s25, exec_lo, s2
	s_cbranch_execz .LBB7_7
; %bb.1:
	s_clause 0x3
	s_load_b128 s[12:15], s[0:1], 0x4
	s_load_b64 s[16:17], s[0:1], 0x14
	s_load_b128 s[8:11], s[0:1], 0xc4
	s_load_b128 s[4:7], s[0:1], 0x148
	s_cmp_lg_u32 s22, 0
	s_mov_b32 s30, exec_lo
	s_cselect_b32 s29, -1, 0
	s_add_u32 s18, s0, 0xc4
	s_addc_u32 s19, s1, 0
	s_min_u32 s28, s23, 15
	s_cmp_gt_u32 s22, 1
	s_cselect_b32 s26, -1, 0
	v_cmpx_gt_i32_e64 s27, v7
	s_cbranch_execz .LBB7_14
; %bb.2:
	s_and_not1_b32 vcc_lo, exec_lo, s24
	s_cbranch_vccnz .LBB7_21
; %bb.3:
	v_dual_mov_b32 v0, 0 :: v_dual_mov_b32 v1, 0
	s_and_not1_b32 vcc_lo, exec_lo, s29
	s_mov_b32 s31, 0
	s_cbranch_vccnz .LBB7_121
; %bb.4:
	v_mov_b32_e32 v0, 0
	s_add_i32 s34, s28, 1
	s_cmp_eq_u32 s23, 2
	s_mov_b32 s33, 0
	s_cbranch_scc1 .LBB7_117
; %bb.5:
	v_dual_mov_b32 v1, 0 :: v_dual_mov_b32 v0, 0
	v_mov_b32_e32 v2, v7
	s_and_b32 s33, s34, 28
	s_mov_b32 s35, 0
	s_mov_b64 s[2:3], s[18:19]
	s_mov_b64 s[20:21], s[0:1]
.LBB7_6:                                ; =>This Inner Loop Header: Depth=1
	s_clause 0x1
	s_load_b256 s[36:43], s[20:21], 0x4
	s_load_b128 s[52:55], s[20:21], 0x24
	s_load_b256 s[44:51], s[2:3], 0x0
	s_add_u32 s20, s20, 48
	s_addc_u32 s21, s21, 0
	s_add_i32 s35, s35, 4
	s_add_u32 s2, s2, 32
	s_addc_u32 s3, s3, 0
	s_cmp_lg_u32 s33, s35
	s_waitcnt lgkmcnt(0)
	v_mul_hi_u32 v3, s37, v2
	s_delay_alu instid0(VALU_DEP_1) | instskip(NEXT) | instid1(VALU_DEP_1)
	v_add_nc_u32_e32 v3, v2, v3
	v_lshrrev_b32_e32 v3, s38, v3
	s_delay_alu instid0(VALU_DEP_1) | instskip(SKIP_1) | instid1(VALU_DEP_2)
	v_mul_hi_u32 v4, s40, v3
	v_mul_lo_u32 v6, v3, s36
	v_add_nc_u32_e32 v4, v3, v4
	s_delay_alu instid0(VALU_DEP_2) | instskip(NEXT) | instid1(VALU_DEP_2)
	v_sub_nc_u32_e32 v2, v2, v6
	v_lshrrev_b32_e32 v4, s41, v4
	s_delay_alu instid0(VALU_DEP_2) | instskip(SKIP_1) | instid1(VALU_DEP_3)
	v_mul_lo_u32 v6, v2, s44
	v_mul_lo_u32 v9, v2, s45
	v_mul_hi_u32 v5, s43, v4
	s_delay_alu instid0(VALU_DEP_1) | instskip(NEXT) | instid1(VALU_DEP_1)
	v_add_nc_u32_e32 v5, v4, v5
	v_lshrrev_b32_e32 v5, s52, v5
	s_delay_alu instid0(VALU_DEP_1) | instskip(SKIP_1) | instid1(VALU_DEP_2)
	v_mul_hi_u32 v8, s54, v5
	v_mul_lo_u32 v10, v5, s42
	v_add_nc_u32_e32 v2, v5, v8
	v_mul_lo_u32 v8, v4, s39
	s_delay_alu instid0(VALU_DEP_3) | instskip(NEXT) | instid1(VALU_DEP_3)
	v_sub_nc_u32_e32 v4, v4, v10
	v_lshrrev_b32_e32 v2, s55, v2
	s_delay_alu instid0(VALU_DEP_2) | instskip(SKIP_2) | instid1(VALU_DEP_4)
	v_mul_lo_u32 v10, v4, s48
	v_mul_lo_u32 v4, v4, s49
	v_sub_nc_u32_e32 v3, v3, v8
	v_mul_lo_u32 v11, v2, s53
	s_delay_alu instid0(VALU_DEP_2) | instskip(SKIP_1) | instid1(VALU_DEP_3)
	v_mul_lo_u32 v8, v3, s46
	v_mul_lo_u32 v3, v3, s47
	v_sub_nc_u32_e32 v5, v5, v11
	s_delay_alu instid0(VALU_DEP_3) | instskip(NEXT) | instid1(VALU_DEP_2)
	v_add3_u32 v0, v6, v0, v8
	v_mul_lo_u32 v11, v5, s50
	v_mul_lo_u32 v5, v5, s51
	v_add3_u32 v1, v9, v1, v3
	s_delay_alu instid0(VALU_DEP_3) | instskip(NEXT) | instid1(VALU_DEP_2)
	v_add3_u32 v0, v10, v0, v11
	v_add3_u32 v1, v4, v1, v5
	s_cbranch_scc1 .LBB7_6
	s_branch .LBB7_118
.LBB7_7:
	s_and_not1_saveexec_b32 s2, s25
	s_cbranch_execz .LBB7_166
.LBB7_8:
	v_cndmask_b32_e64 v3, 0, 1, s24
	s_and_not1_b32 vcc_lo, exec_lo, s24
	s_cbranch_vccnz .LBB7_20
; %bb.9:
	v_dual_mov_b32 v0, 0 :: v_dual_mov_b32 v5, 0
	s_cmp_lg_u32 s22, 0
	s_waitcnt lgkmcnt(0)
	s_mov_b32 s6, 0
	s_cbranch_scc0 .LBB7_26
; %bb.10:
	s_min_u32 s7, s23, 15
	v_mov_b32_e32 v0, 0
	s_add_i32 s7, s7, 1
	s_cmp_eq_u32 s23, 2
	s_mov_b32 s8, 0
	s_cbranch_scc1 .LBB7_23
; %bb.11:
	v_dual_mov_b32 v5, 0 :: v_dual_mov_b32 v0, 0
	v_mov_b32_e32 v1, v7
	s_add_u32 s2, s0, 0xc4
	s_addc_u32 s3, s1, 0
	s_and_b32 s8, s7, 28
	s_mov_b32 s9, 0
	s_mov_b64 s[4:5], s[0:1]
.LBB7_12:                               ; =>This Inner Loop Header: Depth=1
	s_clause 0x1
	s_load_b256 s[12:19], s[4:5], 0x4
	s_load_b128 s[36:39], s[4:5], 0x24
	s_load_b256 s[24:31], s[2:3], 0x0
	s_add_u32 s4, s4, 48
	s_addc_u32 s5, s5, 0
	s_add_i32 s9, s9, 4
	s_add_u32 s2, s2, 32
	s_addc_u32 s3, s3, 0
	s_cmp_lg_u32 s8, s9
	s_waitcnt lgkmcnt(0)
	v_mul_hi_u32 v2, s13, v1
	s_delay_alu instid0(VALU_DEP_1) | instskip(NEXT) | instid1(VALU_DEP_1)
	v_add_nc_u32_e32 v2, v1, v2
	v_lshrrev_b32_e32 v2, s14, v2
	s_delay_alu instid0(VALU_DEP_1) | instskip(SKIP_1) | instid1(VALU_DEP_2)
	v_mul_hi_u32 v4, s16, v2
	v_mul_lo_u32 v9, v2, s12
	v_add_nc_u32_e32 v4, v2, v4
	s_delay_alu instid0(VALU_DEP_2) | instskip(NEXT) | instid1(VALU_DEP_2)
	v_sub_nc_u32_e32 v1, v1, v9
	v_lshrrev_b32_e32 v4, s17, v4
	s_delay_alu instid0(VALU_DEP_2) | instskip(SKIP_1) | instid1(VALU_DEP_3)
	v_mul_lo_u32 v9, v1, s24
	v_mul_lo_u32 v11, v1, s25
	v_mul_hi_u32 v8, s19, v4
	s_delay_alu instid0(VALU_DEP_1) | instskip(NEXT) | instid1(VALU_DEP_1)
	v_add_nc_u32_e32 v8, v4, v8
	v_lshrrev_b32_e32 v8, s36, v8
	s_delay_alu instid0(VALU_DEP_1) | instskip(SKIP_1) | instid1(VALU_DEP_2)
	v_mul_hi_u32 v10, s38, v8
	v_mul_lo_u32 v12, v8, s18
	v_add_nc_u32_e32 v1, v8, v10
	v_mul_lo_u32 v10, v4, s15
	s_delay_alu instid0(VALU_DEP_3) | instskip(NEXT) | instid1(VALU_DEP_3)
	v_sub_nc_u32_e32 v4, v4, v12
	v_lshrrev_b32_e32 v1, s39, v1
	s_delay_alu instid0(VALU_DEP_2) | instskip(SKIP_2) | instid1(VALU_DEP_4)
	v_mul_lo_u32 v12, v4, s28
	v_mul_lo_u32 v4, v4, s29
	v_sub_nc_u32_e32 v2, v2, v10
	v_mul_lo_u32 v13, v1, s37
	s_delay_alu instid0(VALU_DEP_2) | instskip(SKIP_1) | instid1(VALU_DEP_3)
	v_mul_lo_u32 v10, v2, s26
	v_mul_lo_u32 v2, v2, s27
	v_sub_nc_u32_e32 v8, v8, v13
	s_delay_alu instid0(VALU_DEP_3) | instskip(NEXT) | instid1(VALU_DEP_2)
	v_add3_u32 v0, v9, v0, v10
	v_mul_lo_u32 v13, v8, s30
	v_mul_lo_u32 v8, v8, s31
	v_add3_u32 v2, v11, v5, v2
	s_delay_alu instid0(VALU_DEP_3) | instskip(NEXT) | instid1(VALU_DEP_2)
	v_add3_u32 v0, v12, v0, v13
	v_add3_u32 v5, v4, v2, v8
	s_cbranch_scc1 .LBB7_12
; %bb.13:
	s_and_b32 s7, s7, 3
	s_delay_alu instid0(SALU_CYCLE_1)
	s_cmp_eq_u32 s7, 0
	s_cbranch_scc0 .LBB7_24
	s_branch .LBB7_26
.LBB7_14:
	s_or_b32 exec_lo, exec_lo, s30
	s_delay_alu instid0(SALU_CYCLE_1)
	s_mov_b32 s30, exec_lo
	v_cmpx_gt_i32_e64 s27, v7
	s_cbranch_execz .LBB7_137
.LBB7_15:
	s_and_not1_b32 vcc_lo, exec_lo, s24
	s_cbranch_vccnz .LBB7_22
; %bb.16:
	v_dual_mov_b32 v0, 0 :: v_dual_mov_b32 v1, 0
	s_and_not1_b32 vcc_lo, exec_lo, s29
	s_mov_b32 s31, 0
	s_cbranch_vccnz .LBB7_148
; %bb.17:
	v_mov_b32_e32 v0, 0
	s_add_i32 s34, s28, 1
	s_cmp_eq_u32 s23, 2
	s_mov_b32 s33, 0
	s_cbranch_scc1 .LBB7_144
; %bb.18:
	v_dual_mov_b32 v1, 0 :: v_dual_mov_b32 v0, 0
	v_mov_b32_e32 v2, v7
	s_and_b32 s33, s34, 28
	s_mov_b32 s35, 0
	s_mov_b64 s[2:3], s[18:19]
	s_mov_b64 s[20:21], s[0:1]
.LBB7_19:                               ; =>This Inner Loop Header: Depth=1
	s_clause 0x1
	s_load_b256 s[36:43], s[20:21], 0x4
	s_load_b128 s[52:55], s[20:21], 0x24
	s_load_b256 s[44:51], s[2:3], 0x0
	s_add_u32 s20, s20, 48
	s_addc_u32 s21, s21, 0
	s_add_i32 s35, s35, 4
	s_add_u32 s2, s2, 32
	s_addc_u32 s3, s3, 0
	s_cmp_eq_u32 s33, s35
	s_waitcnt lgkmcnt(0)
	v_mul_hi_u32 v3, s37, v2
	s_delay_alu instid0(VALU_DEP_1) | instskip(NEXT) | instid1(VALU_DEP_1)
	v_add_nc_u32_e32 v3, v2, v3
	v_lshrrev_b32_e32 v3, s38, v3
	s_delay_alu instid0(VALU_DEP_1) | instskip(SKIP_1) | instid1(VALU_DEP_2)
	v_mul_hi_u32 v4, s40, v3
	v_mul_lo_u32 v6, v3, s36
	v_add_nc_u32_e32 v4, v3, v4
	s_delay_alu instid0(VALU_DEP_2) | instskip(NEXT) | instid1(VALU_DEP_2)
	v_sub_nc_u32_e32 v2, v2, v6
	v_lshrrev_b32_e32 v4, s41, v4
	s_delay_alu instid0(VALU_DEP_2) | instskip(SKIP_1) | instid1(VALU_DEP_3)
	v_mul_lo_u32 v6, v2, s44
	v_mul_lo_u32 v9, v2, s45
	v_mul_hi_u32 v5, s43, v4
	s_delay_alu instid0(VALU_DEP_1) | instskip(NEXT) | instid1(VALU_DEP_1)
	v_add_nc_u32_e32 v5, v4, v5
	v_lshrrev_b32_e32 v5, s52, v5
	s_delay_alu instid0(VALU_DEP_1) | instskip(SKIP_1) | instid1(VALU_DEP_2)
	v_mul_hi_u32 v8, s54, v5
	v_mul_lo_u32 v10, v5, s42
	v_add_nc_u32_e32 v2, v5, v8
	v_mul_lo_u32 v8, v4, s39
	s_delay_alu instid0(VALU_DEP_3) | instskip(NEXT) | instid1(VALU_DEP_3)
	v_sub_nc_u32_e32 v4, v4, v10
	v_lshrrev_b32_e32 v2, s55, v2
	s_delay_alu instid0(VALU_DEP_2) | instskip(SKIP_2) | instid1(VALU_DEP_4)
	v_mul_lo_u32 v10, v4, s48
	v_mul_lo_u32 v4, v4, s49
	v_sub_nc_u32_e32 v3, v3, v8
	v_mul_lo_u32 v11, v2, s53
	s_delay_alu instid0(VALU_DEP_2) | instskip(SKIP_1) | instid1(VALU_DEP_3)
	v_mul_lo_u32 v8, v3, s46
	v_mul_lo_u32 v3, v3, s47
	v_sub_nc_u32_e32 v5, v5, v11
	s_delay_alu instid0(VALU_DEP_3) | instskip(NEXT) | instid1(VALU_DEP_2)
	v_add3_u32 v0, v6, v0, v8
	v_mul_lo_u32 v11, v5, s50
	v_mul_lo_u32 v5, v5, s51
	v_add3_u32 v1, v9, v1, v3
	s_delay_alu instid0(VALU_DEP_3) | instskip(NEXT) | instid1(VALU_DEP_2)
	v_add3_u32 v0, v10, v0, v11
	v_add3_u32 v1, v4, v1, v5
	s_cbranch_scc0 .LBB7_19
	s_branch .LBB7_145
.LBB7_20:
	s_waitcnt lgkmcnt(0)
	s_mov_b32 s6, -1
                                        ; implicit-def: $vgpr0
                                        ; implicit-def: $vgpr5
	s_branch .LBB7_26
.LBB7_21:
	s_mov_b32 s31, -1
                                        ; implicit-def: $vgpr0
                                        ; implicit-def: $vgpr1
	s_branch .LBB7_121
.LBB7_22:
	s_mov_b32 s31, -1
                                        ; implicit-def: $vgpr0
                                        ; implicit-def: $vgpr1
	s_branch .LBB7_148
.LBB7_23:
	v_mov_b32_e32 v1, v7
	v_mov_b32_e32 v5, 0
	s_and_b32 s7, s7, 3
	s_delay_alu instid0(SALU_CYCLE_1)
	s_cmp_eq_u32 s7, 0
	s_cbranch_scc1 .LBB7_26
.LBB7_24:
	s_lshl_b32 s2, s8, 3
	s_mul_i32 s4, s8, 12
	s_add_u32 s2, s2, s0
	s_addc_u32 s3, 0, s1
	s_add_u32 s2, s2, 0xc4
	s_addc_u32 s3, s3, 0
	;; [unrolled: 2-line block ×3, first 2 shown]
	.p2align	6
.LBB7_25:                               ; =>This Inner Loop Header: Depth=1
	s_clause 0x1
	s_load_b64 s[8:9], s[4:5], 0x4
	s_load_b32 s12, s[4:5], 0xc
	s_load_b64 s[10:11], s[2:3], 0x0
	s_add_u32 s4, s4, 12
	s_addc_u32 s5, s5, 0
	s_add_u32 s2, s2, 8
	s_addc_u32 s3, s3, 0
	s_add_i32 s7, s7, -1
	s_delay_alu instid0(SALU_CYCLE_1) | instskip(SKIP_2) | instid1(VALU_DEP_1)
	s_cmp_lg_u32 s7, 0
	s_waitcnt lgkmcnt(0)
	v_mul_hi_u32 v2, s9, v1
	v_add_nc_u32_e32 v2, v1, v2
	s_delay_alu instid0(VALU_DEP_1) | instskip(NEXT) | instid1(VALU_DEP_1)
	v_lshrrev_b32_e32 v2, s12, v2
	v_mul_lo_u32 v4, v2, s8
	s_delay_alu instid0(VALU_DEP_1) | instskip(NEXT) | instid1(VALU_DEP_1)
	v_sub_nc_u32_e32 v1, v1, v4
	v_mad_u64_u32 v[8:9], null, v1, s10, v[0:1]
	v_mad_u64_u32 v[9:10], null, v1, s11, v[5:6]
	s_delay_alu instid0(VALU_DEP_2) | instskip(NEXT) | instid1(VALU_DEP_2)
	v_dual_mov_b32 v1, v2 :: v_dual_mov_b32 v0, v8
	v_mov_b32_e32 v5, v9
	s_cbranch_scc1 .LBB7_25
.LBB7_26:
	s_and_not1_b32 vcc_lo, exec_lo, s6
	s_cbranch_vccnz .LBB7_29
; %bb.27:
	s_clause 0x1
	s_load_b128 s[4:7], s[0:1], 0x4
	s_load_b64 s[2:3], s[0:1], 0xc4
	s_cmp_lt_u32 s22, 2
	s_waitcnt lgkmcnt(0)
	v_mul_hi_u32 v0, s5, v7
	s_delay_alu instid0(VALU_DEP_1) | instskip(NEXT) | instid1(VALU_DEP_1)
	v_add_nc_u32_e32 v0, v7, v0
	v_lshrrev_b32_e32 v1, s6, v0
	s_delay_alu instid0(VALU_DEP_1) | instskip(NEXT) | instid1(VALU_DEP_1)
	v_mul_lo_u32 v0, v1, s4
	v_sub_nc_u32_e32 v2, v7, v0
	s_delay_alu instid0(VALU_DEP_1)
	v_mul_lo_u32 v0, v2, s2
	v_mul_lo_u32 v5, v2, s3
	s_cbranch_scc1 .LBB7_29
; %bb.28:
	s_clause 0x1
	s_load_b128 s[4:7], s[0:1], 0x10
	s_load_b64 s[2:3], s[0:1], 0xcc
	s_waitcnt lgkmcnt(0)
	v_mul_hi_u32 v2, s5, v1
	s_delay_alu instid0(VALU_DEP_1) | instskip(NEXT) | instid1(VALU_DEP_1)
	v_add_nc_u32_e32 v2, v1, v2
	v_lshrrev_b32_e32 v2, s6, v2
	s_delay_alu instid0(VALU_DEP_1) | instskip(NEXT) | instid1(VALU_DEP_1)
	v_mul_lo_u32 v2, v2, s4
	v_sub_nc_u32_e32 v4, v1, v2
	s_delay_alu instid0(VALU_DEP_1) | instskip(SKIP_1) | instid1(VALU_DEP_1)
	v_mad_u64_u32 v[1:2], null, v4, s2, v[0:1]
	v_mad_u64_u32 v[8:9], null, v4, s3, v[5:6]
	v_dual_mov_b32 v0, v1 :: v_dual_mov_b32 v5, v8
.LBB7_29:
	v_cmp_ne_u32_e32 vcc_lo, 1, v3
	v_add_nc_u32_e32 v2, 0x80, v7
	s_cbranch_vccnz .LBB7_35
; %bb.30:
	v_dual_mov_b32 v1, 0 :: v_dual_mov_b32 v10, 0
	s_cmp_lg_u32 s22, 0
	s_mov_b32 s6, 0
	s_cbranch_scc0 .LBB7_39
; %bb.31:
	s_min_u32 s7, s23, 15
	v_mov_b32_e32 v1, 0
	s_add_i32 s7, s7, 1
	s_cmp_eq_u32 s23, 2
	s_mov_b32 s8, 0
	s_cbranch_scc1 .LBB7_36
; %bb.32:
	v_dual_mov_b32 v10, 0 :: v_dual_mov_b32 v1, 0
	v_mov_b32_e32 v4, v2
	s_add_u32 s2, s0, 0xc4
	s_addc_u32 s3, s1, 0
	s_and_b32 s8, s7, 28
	s_mov_b32 s9, 0
	s_mov_b64 s[4:5], s[0:1]
.LBB7_33:                               ; =>This Inner Loop Header: Depth=1
	s_clause 0x1
	s_load_b256 s[12:19], s[4:5], 0x4
	s_load_b128 s[36:39], s[4:5], 0x24
	s_load_b256 s[24:31], s[2:3], 0x0
	s_add_u32 s4, s4, 48
	s_addc_u32 s5, s5, 0
	s_add_i32 s9, s9, 4
	s_add_u32 s2, s2, 32
	s_addc_u32 s3, s3, 0
	s_cmp_lg_u32 s8, s9
	s_waitcnt lgkmcnt(0)
	v_mul_hi_u32 v8, s13, v4
	s_delay_alu instid0(VALU_DEP_1) | instskip(NEXT) | instid1(VALU_DEP_1)
	v_add_nc_u32_e32 v8, v4, v8
	v_lshrrev_b32_e32 v8, s14, v8
	s_delay_alu instid0(VALU_DEP_1) | instskip(SKIP_1) | instid1(VALU_DEP_2)
	v_mul_hi_u32 v9, s16, v8
	v_mul_lo_u32 v12, v8, s12
	v_add_nc_u32_e32 v9, v8, v9
	s_delay_alu instid0(VALU_DEP_2) | instskip(NEXT) | instid1(VALU_DEP_2)
	v_sub_nc_u32_e32 v4, v4, v12
	v_lshrrev_b32_e32 v9, s17, v9
	s_delay_alu instid0(VALU_DEP_2) | instskip(SKIP_1) | instid1(VALU_DEP_3)
	v_mul_lo_u32 v12, v4, s24
	v_mul_lo_u32 v14, v4, s25
	v_mul_hi_u32 v11, s19, v9
	s_delay_alu instid0(VALU_DEP_1) | instskip(NEXT) | instid1(VALU_DEP_1)
	v_add_nc_u32_e32 v11, v9, v11
	v_lshrrev_b32_e32 v11, s36, v11
	s_delay_alu instid0(VALU_DEP_1) | instskip(SKIP_1) | instid1(VALU_DEP_2)
	v_mul_hi_u32 v13, s38, v11
	v_mul_lo_u32 v15, v11, s18
	v_add_nc_u32_e32 v4, v11, v13
	v_mul_lo_u32 v13, v9, s15
	s_delay_alu instid0(VALU_DEP_3) | instskip(NEXT) | instid1(VALU_DEP_3)
	v_sub_nc_u32_e32 v9, v9, v15
	v_lshrrev_b32_e32 v4, s39, v4
	s_delay_alu instid0(VALU_DEP_2) | instskip(SKIP_2) | instid1(VALU_DEP_4)
	v_mul_lo_u32 v15, v9, s28
	v_mul_lo_u32 v9, v9, s29
	v_sub_nc_u32_e32 v8, v8, v13
	v_mul_lo_u32 v16, v4, s37
	s_delay_alu instid0(VALU_DEP_2) | instskip(SKIP_1) | instid1(VALU_DEP_3)
	v_mul_lo_u32 v13, v8, s26
	v_mul_lo_u32 v8, v8, s27
	v_sub_nc_u32_e32 v11, v11, v16
	s_delay_alu instid0(VALU_DEP_3) | instskip(NEXT) | instid1(VALU_DEP_2)
	v_add3_u32 v1, v12, v1, v13
	v_mul_lo_u32 v16, v11, s30
	v_mul_lo_u32 v11, v11, s31
	v_add3_u32 v8, v14, v10, v8
	s_delay_alu instid0(VALU_DEP_3) | instskip(NEXT) | instid1(VALU_DEP_2)
	v_add3_u32 v1, v15, v1, v16
	v_add3_u32 v10, v9, v8, v11
	s_cbranch_scc1 .LBB7_33
; %bb.34:
	s_and_b32 s7, s7, 3
	s_delay_alu instid0(SALU_CYCLE_1)
	s_cmp_eq_u32 s7, 0
	s_cbranch_scc0 .LBB7_37
	s_branch .LBB7_39
.LBB7_35:
	s_mov_b32 s6, -1
                                        ; implicit-def: $vgpr1
                                        ; implicit-def: $vgpr10
	s_branch .LBB7_39
.LBB7_36:
	v_mov_b32_e32 v4, v2
	v_mov_b32_e32 v10, 0
	s_and_b32 s7, s7, 3
	s_delay_alu instid0(SALU_CYCLE_1)
	s_cmp_eq_u32 s7, 0
	s_cbranch_scc1 .LBB7_39
.LBB7_37:
	s_lshl_b32 s2, s8, 3
	s_mul_i32 s4, s8, 12
	s_add_u32 s2, s2, s0
	s_addc_u32 s3, 0, s1
	s_add_u32 s2, s2, 0xc4
	s_addc_u32 s3, s3, 0
	s_add_u32 s4, s0, s4
	s_addc_u32 s5, 0, s1
	.p2align	6
.LBB7_38:                               ; =>This Inner Loop Header: Depth=1
	s_clause 0x1
	s_load_b64 s[8:9], s[4:5], 0x4
	s_load_b32 s12, s[4:5], 0xc
	s_load_b64 s[10:11], s[2:3], 0x0
	s_add_u32 s4, s4, 12
	s_addc_u32 s5, s5, 0
	s_add_u32 s2, s2, 8
	s_addc_u32 s3, s3, 0
	s_add_i32 s7, s7, -1
	s_delay_alu instid0(SALU_CYCLE_1) | instskip(SKIP_2) | instid1(VALU_DEP_1)
	s_cmp_lg_u32 s7, 0
	s_waitcnt lgkmcnt(0)
	v_mul_hi_u32 v8, s9, v4
	v_add_nc_u32_e32 v8, v4, v8
	s_delay_alu instid0(VALU_DEP_1) | instskip(NEXT) | instid1(VALU_DEP_1)
	v_lshrrev_b32_e32 v13, s12, v8
	v_mul_lo_u32 v8, v13, s8
	s_delay_alu instid0(VALU_DEP_1) | instskip(NEXT) | instid1(VALU_DEP_1)
	v_sub_nc_u32_e32 v4, v4, v8
	v_mad_u64_u32 v[8:9], null, v4, s10, v[1:2]
	v_mad_u64_u32 v[11:12], null, v4, s11, v[10:11]
	s_delay_alu instid0(VALU_DEP_2) | instskip(NEXT) | instid1(VALU_DEP_2)
	v_dual_mov_b32 v4, v13 :: v_dual_mov_b32 v1, v8
	v_mov_b32_e32 v10, v11
	s_cbranch_scc1 .LBB7_38
.LBB7_39:
	s_and_not1_b32 vcc_lo, exec_lo, s6
	s_cbranch_vccnz .LBB7_42
; %bb.40:
	s_clause 0x1
	s_load_b128 s[4:7], s[0:1], 0x4
	s_load_b64 s[2:3], s[0:1], 0xc4
	s_cmp_lt_u32 s22, 2
	s_waitcnt lgkmcnt(0)
	v_mul_hi_u32 v1, s5, v2
	s_delay_alu instid0(VALU_DEP_1) | instskip(NEXT) | instid1(VALU_DEP_1)
	v_add_nc_u32_e32 v1, v2, v1
	v_lshrrev_b32_e32 v4, s6, v1
	s_delay_alu instid0(VALU_DEP_1) | instskip(NEXT) | instid1(VALU_DEP_1)
	v_mul_lo_u32 v1, v4, s4
	v_sub_nc_u32_e32 v2, v2, v1
	s_delay_alu instid0(VALU_DEP_1)
	v_mul_lo_u32 v1, v2, s2
	v_mul_lo_u32 v10, v2, s3
	s_cbranch_scc1 .LBB7_42
; %bb.41:
	s_clause 0x1
	s_load_b128 s[4:7], s[0:1], 0x10
	s_load_b64 s[2:3], s[0:1], 0xcc
	s_waitcnt lgkmcnt(0)
	v_mul_hi_u32 v2, s5, v4
	s_delay_alu instid0(VALU_DEP_1) | instskip(NEXT) | instid1(VALU_DEP_1)
	v_add_nc_u32_e32 v2, v4, v2
	v_lshrrev_b32_e32 v2, s6, v2
	s_delay_alu instid0(VALU_DEP_1) | instskip(NEXT) | instid1(VALU_DEP_1)
	v_mul_lo_u32 v2, v2, s4
	v_sub_nc_u32_e32 v2, v4, v2
	s_delay_alu instid0(VALU_DEP_1) | instskip(SKIP_1) | instid1(VALU_DEP_1)
	v_mad_u64_u32 v[8:9], null, v2, s2, v[1:2]
	v_mad_u64_u32 v[11:12], null, v2, s3, v[10:11]
	v_dual_mov_b32 v1, v8 :: v_dual_mov_b32 v10, v11
.LBB7_42:
	v_cmp_ne_u32_e32 vcc_lo, 1, v3
	v_add_nc_u32_e32 v4, 0x100, v7
	s_cbranch_vccnz .LBB7_48
; %bb.43:
	v_dual_mov_b32 v2, 0 :: v_dual_mov_b32 v9, 0
	s_cmp_lg_u32 s22, 0
	s_mov_b32 s6, 0
	s_cbranch_scc0 .LBB7_52
; %bb.44:
	s_min_u32 s7, s23, 15
	v_mov_b32_e32 v2, 0
	s_add_i32 s7, s7, 1
	s_cmp_eq_u32 s23, 2
	s_mov_b32 s8, 0
	s_cbranch_scc1 .LBB7_49
; %bb.45:
	v_dual_mov_b32 v9, 0 :: v_dual_mov_b32 v2, 0
	v_mov_b32_e32 v7, v4
	s_add_u32 s2, s0, 0xc4
	s_addc_u32 s3, s1, 0
	s_and_b32 s8, s7, 28
	s_mov_b32 s9, 0
	s_mov_b64 s[4:5], s[0:1]
.LBB7_46:                               ; =>This Inner Loop Header: Depth=1
	s_clause 0x1
	s_load_b256 s[12:19], s[4:5], 0x4
	s_load_b128 s[36:39], s[4:5], 0x24
	s_load_b256 s[24:31], s[2:3], 0x0
	s_add_u32 s4, s4, 48
	s_addc_u32 s5, s5, 0
	s_add_i32 s9, s9, 4
	s_add_u32 s2, s2, 32
	s_addc_u32 s3, s3, 0
	s_cmp_lg_u32 s8, s9
	s_waitcnt lgkmcnt(0)
	v_mul_hi_u32 v8, s13, v7
	s_delay_alu instid0(VALU_DEP_1) | instskip(NEXT) | instid1(VALU_DEP_1)
	v_add_nc_u32_e32 v8, v7, v8
	v_lshrrev_b32_e32 v8, s14, v8
	s_delay_alu instid0(VALU_DEP_1) | instskip(SKIP_1) | instid1(VALU_DEP_2)
	v_mul_hi_u32 v11, s16, v8
	v_mul_lo_u32 v13, v8, s12
	v_add_nc_u32_e32 v11, v8, v11
	s_delay_alu instid0(VALU_DEP_2) | instskip(NEXT) | instid1(VALU_DEP_2)
	v_sub_nc_u32_e32 v7, v7, v13
	v_lshrrev_b32_e32 v11, s17, v11
	s_delay_alu instid0(VALU_DEP_2) | instskip(SKIP_1) | instid1(VALU_DEP_3)
	v_mul_lo_u32 v13, v7, s24
	v_mul_lo_u32 v15, v7, s25
	v_mul_hi_u32 v12, s19, v11
	s_delay_alu instid0(VALU_DEP_1) | instskip(NEXT) | instid1(VALU_DEP_1)
	v_add_nc_u32_e32 v12, v11, v12
	v_lshrrev_b32_e32 v12, s36, v12
	s_delay_alu instid0(VALU_DEP_1) | instskip(SKIP_1) | instid1(VALU_DEP_2)
	v_mul_hi_u32 v14, s38, v12
	v_mul_lo_u32 v16, v12, s18
	v_add_nc_u32_e32 v7, v12, v14
	v_mul_lo_u32 v14, v11, s15
	s_delay_alu instid0(VALU_DEP_3) | instskip(NEXT) | instid1(VALU_DEP_3)
	v_sub_nc_u32_e32 v11, v11, v16
	v_lshrrev_b32_e32 v7, s39, v7
	s_delay_alu instid0(VALU_DEP_2) | instskip(SKIP_2) | instid1(VALU_DEP_4)
	v_mul_lo_u32 v16, v11, s28
	v_mul_lo_u32 v11, v11, s29
	v_sub_nc_u32_e32 v8, v8, v14
	v_mul_lo_u32 v17, v7, s37
	s_delay_alu instid0(VALU_DEP_2) | instskip(SKIP_1) | instid1(VALU_DEP_3)
	v_mul_lo_u32 v14, v8, s26
	v_mul_lo_u32 v8, v8, s27
	v_sub_nc_u32_e32 v12, v12, v17
	s_delay_alu instid0(VALU_DEP_3) | instskip(NEXT) | instid1(VALU_DEP_2)
	v_add3_u32 v2, v13, v2, v14
	v_mul_lo_u32 v17, v12, s30
	v_mul_lo_u32 v12, v12, s31
	v_add3_u32 v8, v15, v9, v8
	s_delay_alu instid0(VALU_DEP_3) | instskip(NEXT) | instid1(VALU_DEP_2)
	v_add3_u32 v2, v16, v2, v17
	v_add3_u32 v9, v11, v8, v12
	s_cbranch_scc1 .LBB7_46
; %bb.47:
	s_and_b32 s7, s7, 3
	s_delay_alu instid0(SALU_CYCLE_1)
	s_cmp_eq_u32 s7, 0
	s_cbranch_scc0 .LBB7_50
	s_branch .LBB7_52
.LBB7_48:
	s_mov_b32 s6, -1
                                        ; implicit-def: $vgpr2
                                        ; implicit-def: $vgpr9
	s_branch .LBB7_52
.LBB7_49:
	v_mov_b32_e32 v7, v4
	v_mov_b32_e32 v9, 0
	s_and_b32 s7, s7, 3
	s_delay_alu instid0(SALU_CYCLE_1)
	s_cmp_eq_u32 s7, 0
	s_cbranch_scc1 .LBB7_52
.LBB7_50:
	s_lshl_b32 s2, s8, 3
	s_mul_i32 s4, s8, 12
	s_add_u32 s2, s2, s0
	s_addc_u32 s3, 0, s1
	s_add_u32 s2, s2, 0xc4
	s_addc_u32 s3, s3, 0
	s_add_u32 s4, s0, s4
	s_addc_u32 s5, 0, s1
	.p2align	6
.LBB7_51:                               ; =>This Inner Loop Header: Depth=1
	s_clause 0x1
	s_load_b64 s[8:9], s[4:5], 0x4
	s_load_b32 s12, s[4:5], 0xc
	s_load_b64 s[10:11], s[2:3], 0x0
	s_add_u32 s4, s4, 12
	s_addc_u32 s5, s5, 0
	s_add_u32 s2, s2, 8
	s_addc_u32 s3, s3, 0
	s_add_i32 s7, s7, -1
	s_delay_alu instid0(SALU_CYCLE_1) | instskip(SKIP_2) | instid1(VALU_DEP_1)
	s_cmp_lg_u32 s7, 0
	s_waitcnt lgkmcnt(0)
	v_mul_hi_u32 v8, s9, v7
	v_add_nc_u32_e32 v8, v7, v8
	s_delay_alu instid0(VALU_DEP_1) | instskip(NEXT) | instid1(VALU_DEP_1)
	v_lshrrev_b32_e32 v8, s12, v8
	v_mul_lo_u32 v11, v8, s8
	s_delay_alu instid0(VALU_DEP_1) | instskip(NEXT) | instid1(VALU_DEP_1)
	v_sub_nc_u32_e32 v7, v7, v11
	v_mad_u64_u32 v[11:12], null, v7, s10, v[2:3]
	v_mad_u64_u32 v[12:13], null, v7, s11, v[9:10]
	s_delay_alu instid0(VALU_DEP_2) | instskip(NEXT) | instid1(VALU_DEP_2)
	v_dual_mov_b32 v7, v8 :: v_dual_mov_b32 v2, v11
	v_mov_b32_e32 v9, v12
	s_cbranch_scc1 .LBB7_51
.LBB7_52:
	s_and_not1_b32 vcc_lo, exec_lo, s6
	s_cbranch_vccnz .LBB7_55
; %bb.53:
	s_clause 0x1
	s_load_b128 s[4:7], s[0:1], 0x4
	s_load_b64 s[2:3], s[0:1], 0xc4
	s_cmp_lt_u32 s22, 2
	s_waitcnt lgkmcnt(0)
	v_mul_hi_u32 v2, s5, v4
	s_delay_alu instid0(VALU_DEP_1) | instskip(NEXT) | instid1(VALU_DEP_1)
	v_add_nc_u32_e32 v2, v4, v2
	v_lshrrev_b32_e32 v7, s6, v2
	s_delay_alu instid0(VALU_DEP_1) | instskip(NEXT) | instid1(VALU_DEP_1)
	v_mul_lo_u32 v2, v7, s4
	v_sub_nc_u32_e32 v4, v4, v2
	s_delay_alu instid0(VALU_DEP_1)
	v_mul_lo_u32 v2, v4, s2
	v_mul_lo_u32 v9, v4, s3
	s_cbranch_scc1 .LBB7_55
; %bb.54:
	s_clause 0x1
	s_load_b128 s[4:7], s[0:1], 0x10
	s_load_b64 s[2:3], s[0:1], 0xcc
	s_waitcnt lgkmcnt(0)
	v_mul_hi_u32 v4, s5, v7
	s_delay_alu instid0(VALU_DEP_1) | instskip(NEXT) | instid1(VALU_DEP_1)
	v_add_nc_u32_e32 v4, v7, v4
	v_lshrrev_b32_e32 v4, s6, v4
	s_delay_alu instid0(VALU_DEP_1) | instskip(NEXT) | instid1(VALU_DEP_1)
	v_mul_lo_u32 v4, v4, s4
	v_sub_nc_u32_e32 v4, v7, v4
	s_delay_alu instid0(VALU_DEP_1) | instskip(SKIP_1) | instid1(VALU_DEP_2)
	v_mad_u64_u32 v[7:8], null, v4, s2, v[2:3]
	v_mad_u64_u32 v[11:12], null, v4, s3, v[9:10]
	v_mov_b32_e32 v2, v7
	s_delay_alu instid0(VALU_DEP_2)
	v_mov_b32_e32 v9, v11
.LBB7_55:
	v_cmp_ne_u32_e32 vcc_lo, 1, v3
	s_cbranch_vccnz .LBB7_61
; %bb.56:
	v_dual_mov_b32 v3, 0 :: v_dual_mov_b32 v4, 0
	s_cmp_lg_u32 s22, 0
	s_mov_b32 s6, 0
	s_cbranch_scc0 .LBB7_65
; %bb.57:
	s_min_u32 s7, s23, 15
	v_mov_b32_e32 v3, 0
	s_add_i32 s7, s7, 1
	s_cmp_eq_u32 s23, 2
	s_mov_b32 s8, 0
	s_cbranch_scc1 .LBB7_62
; %bb.58:
	v_dual_mov_b32 v4, 0 :: v_dual_mov_b32 v3, 0
	v_mov_b32_e32 v7, v6
	s_add_u32 s2, s0, 0xc4
	s_addc_u32 s3, s1, 0
	s_and_b32 s8, s7, 28
	s_mov_b32 s9, 0
	s_mov_b64 s[4:5], s[0:1]
.LBB7_59:                               ; =>This Inner Loop Header: Depth=1
	s_clause 0x1
	s_load_b256 s[12:19], s[4:5], 0x4
	s_load_b128 s[36:39], s[4:5], 0x24
	s_load_b256 s[24:31], s[2:3], 0x0
	s_add_u32 s4, s4, 48
	s_addc_u32 s5, s5, 0
	s_add_i32 s9, s9, 4
	s_add_u32 s2, s2, 32
	s_addc_u32 s3, s3, 0
	s_cmp_lg_u32 s8, s9
	s_waitcnt lgkmcnt(0)
	v_mul_hi_u32 v8, s13, v7
	s_delay_alu instid0(VALU_DEP_1) | instskip(NEXT) | instid1(VALU_DEP_1)
	v_add_nc_u32_e32 v8, v7, v8
	v_lshrrev_b32_e32 v8, s14, v8
	s_delay_alu instid0(VALU_DEP_1) | instskip(SKIP_1) | instid1(VALU_DEP_2)
	v_mul_hi_u32 v11, s16, v8
	v_mul_lo_u32 v13, v8, s12
	v_add_nc_u32_e32 v11, v8, v11
	s_delay_alu instid0(VALU_DEP_2) | instskip(NEXT) | instid1(VALU_DEP_2)
	v_sub_nc_u32_e32 v7, v7, v13
	v_lshrrev_b32_e32 v11, s17, v11
	s_delay_alu instid0(VALU_DEP_2) | instskip(SKIP_1) | instid1(VALU_DEP_3)
	v_mul_lo_u32 v13, v7, s24
	v_mul_lo_u32 v15, v7, s25
	v_mul_hi_u32 v12, s19, v11
	s_delay_alu instid0(VALU_DEP_1) | instskip(NEXT) | instid1(VALU_DEP_1)
	v_add_nc_u32_e32 v12, v11, v12
	v_lshrrev_b32_e32 v12, s36, v12
	s_delay_alu instid0(VALU_DEP_1) | instskip(SKIP_1) | instid1(VALU_DEP_2)
	v_mul_hi_u32 v14, s38, v12
	v_mul_lo_u32 v16, v12, s18
	v_add_nc_u32_e32 v7, v12, v14
	v_mul_lo_u32 v14, v11, s15
	s_delay_alu instid0(VALU_DEP_3) | instskip(NEXT) | instid1(VALU_DEP_3)
	v_sub_nc_u32_e32 v11, v11, v16
	v_lshrrev_b32_e32 v7, s39, v7
	s_delay_alu instid0(VALU_DEP_2) | instskip(SKIP_2) | instid1(VALU_DEP_4)
	v_mul_lo_u32 v16, v11, s28
	v_mul_lo_u32 v11, v11, s29
	v_sub_nc_u32_e32 v8, v8, v14
	v_mul_lo_u32 v17, v7, s37
	s_delay_alu instid0(VALU_DEP_2) | instskip(SKIP_1) | instid1(VALU_DEP_3)
	v_mul_lo_u32 v14, v8, s26
	v_mul_lo_u32 v8, v8, s27
	v_sub_nc_u32_e32 v12, v12, v17
	s_delay_alu instid0(VALU_DEP_3) | instskip(NEXT) | instid1(VALU_DEP_2)
	v_add3_u32 v3, v13, v3, v14
	v_mul_lo_u32 v17, v12, s30
	v_mul_lo_u32 v12, v12, s31
	v_add3_u32 v4, v15, v4, v8
	s_delay_alu instid0(VALU_DEP_3) | instskip(NEXT) | instid1(VALU_DEP_2)
	v_add3_u32 v3, v16, v3, v17
	v_add3_u32 v4, v11, v4, v12
	s_cbranch_scc1 .LBB7_59
; %bb.60:
	s_and_b32 s7, s7, 3
	s_delay_alu instid0(SALU_CYCLE_1)
	s_cmp_eq_u32 s7, 0
	s_cbranch_scc0 .LBB7_63
	s_branch .LBB7_65
.LBB7_61:
	s_mov_b32 s6, -1
                                        ; implicit-def: $vgpr3
                                        ; implicit-def: $vgpr4
	s_branch .LBB7_65
.LBB7_62:
	v_dual_mov_b32 v7, v6 :: v_dual_mov_b32 v4, 0
	s_and_b32 s7, s7, 3
	s_delay_alu instid0(SALU_CYCLE_1)
	s_cmp_eq_u32 s7, 0
	s_cbranch_scc1 .LBB7_65
.LBB7_63:
	s_lshl_b32 s2, s8, 3
	s_mul_i32 s4, s8, 12
	s_add_u32 s2, s2, s0
	s_addc_u32 s3, 0, s1
	s_add_u32 s2, s2, 0xc4
	s_addc_u32 s3, s3, 0
	;; [unrolled: 2-line block ×3, first 2 shown]
	.p2align	6
.LBB7_64:                               ; =>This Inner Loop Header: Depth=1
	s_clause 0x1
	s_load_b64 s[8:9], s[4:5], 0x4
	s_load_b32 s12, s[4:5], 0xc
	s_load_b64 s[10:11], s[2:3], 0x0
	s_add_u32 s4, s4, 12
	s_addc_u32 s5, s5, 0
	s_add_u32 s2, s2, 8
	s_addc_u32 s3, s3, 0
	s_add_i32 s7, s7, -1
	s_delay_alu instid0(SALU_CYCLE_1) | instskip(SKIP_2) | instid1(VALU_DEP_1)
	s_cmp_lg_u32 s7, 0
	s_waitcnt lgkmcnt(0)
	v_mul_hi_u32 v8, s9, v7
	v_add_nc_u32_e32 v8, v7, v8
	s_delay_alu instid0(VALU_DEP_1) | instskip(NEXT) | instid1(VALU_DEP_1)
	v_lshrrev_b32_e32 v8, s12, v8
	v_mul_lo_u32 v11, v8, s8
	s_delay_alu instid0(VALU_DEP_1) | instskip(NEXT) | instid1(VALU_DEP_1)
	v_sub_nc_u32_e32 v7, v7, v11
	v_mad_u64_u32 v[11:12], null, v7, s10, v[3:4]
	v_mad_u64_u32 v[12:13], null, v7, s11, v[4:5]
	v_mov_b32_e32 v7, v8
	s_delay_alu instid0(VALU_DEP_2)
	v_dual_mov_b32 v3, v11 :: v_dual_mov_b32 v4, v12
	s_cbranch_scc1 .LBB7_64
.LBB7_65:
	s_and_not1_b32 vcc_lo, exec_lo, s6
	s_cbranch_vccnz .LBB7_68
; %bb.66:
	s_clause 0x1
	s_load_b128 s[4:7], s[0:1], 0x4
	s_load_b64 s[2:3], s[0:1], 0xc4
	s_cmp_lt_u32 s22, 2
	s_waitcnt lgkmcnt(0)
	v_mul_hi_u32 v3, s5, v6
	s_delay_alu instid0(VALU_DEP_1) | instskip(NEXT) | instid1(VALU_DEP_1)
	v_add_nc_u32_e32 v3, v6, v3
	v_lshrrev_b32_e32 v7, s6, v3
	s_delay_alu instid0(VALU_DEP_1) | instskip(NEXT) | instid1(VALU_DEP_1)
	v_mul_lo_u32 v3, v7, s4
	v_sub_nc_u32_e32 v4, v6, v3
	s_delay_alu instid0(VALU_DEP_1)
	v_mul_lo_u32 v3, v4, s2
	v_mul_lo_u32 v4, v4, s3
	s_cbranch_scc1 .LBB7_68
; %bb.67:
	s_clause 0x1
	s_load_b128 s[4:7], s[0:1], 0x10
	s_load_b64 s[2:3], s[0:1], 0xcc
	s_waitcnt lgkmcnt(0)
	v_mul_hi_u32 v6, s5, v7
	s_delay_alu instid0(VALU_DEP_1) | instskip(NEXT) | instid1(VALU_DEP_1)
	v_add_nc_u32_e32 v6, v7, v6
	v_lshrrev_b32_e32 v6, s6, v6
	s_delay_alu instid0(VALU_DEP_1) | instskip(NEXT) | instid1(VALU_DEP_1)
	v_mul_lo_u32 v6, v6, s4
	v_sub_nc_u32_e32 v11, v7, v6
	s_delay_alu instid0(VALU_DEP_1) | instskip(SKIP_1) | instid1(VALU_DEP_1)
	v_mad_u64_u32 v[6:7], null, v11, s2, v[3:4]
	v_mad_u64_u32 v[7:8], null, v11, s3, v[4:5]
	v_dual_mov_b32 v3, v6 :: v_dual_mov_b32 v4, v7
.LBB7_68:
	s_load_b128 s[4:7], s[0:1], 0x148
	s_mov_b32 s1, exec_lo
	s_waitcnt lgkmcnt(0)
	global_load_b64 v[11:12], v5, s[6:7]
	v_mov_b32_e32 v5, 0
	v_mov_b32_e32 v6, 0x7ff00000
	s_delay_alu instid0(VALU_DEP_1)
	v_dual_mov_b32 v8, v6 :: v_dual_mov_b32 v7, v5
	s_waitcnt vmcnt(0)
	v_cmpx_neq_f64_e32 0, v[11:12]
	s_cbranch_execz .LBB7_80
; %bb.69:
	v_mov_b32_e32 v7, 0
	v_mov_b32_e32 v8, 0x7ff80000
	s_mov_b32 s2, exec_lo
	v_cmpx_ngt_f64_e32 0, v[11:12]
	s_cbranch_execz .LBB7_79
; %bb.70:
                                        ; implicit-def: $vgpr7_vgpr8
	s_mov_b32 s0, exec_lo
	v_cmpx_ge_f64_e32 2.0, v[11:12]
	s_xor_b32 s3, exec_lo, s0
	s_cbranch_execz .LBB7_76
; %bb.71:
	v_mul_f64 v[7:8], v[11:12], 0.5
	s_mov_b32 s0, exec_lo
                                        ; implicit-def: $vgpr13_vgpr14
	v_cmpx_ge_f64_e32 0x40200000, v[11:12]
	s_xor_b32 s0, exec_lo, s0
	s_cbranch_execz .LBB7_73
; %bb.72:
	s_delay_alu instid0(VALU_DEP_2)
	v_add_f64 v[13:14], v[7:8], -2.0
	s_mov_b32 s8, 0x977da589
	s_mov_b32 s9, 0x3c833362
	;; [unrolled: 1-line block ×4, first 2 shown]
	v_cmp_nlt_f64_e32 vcc_lo, 0x40900000, v[11:12]
	s_delay_alu instid0(VALU_DEP_2) | instskip(SKIP_3) | instid1(VALU_DEP_1)
	v_fma_f64 v[15:16], v[13:14], s[10:11], s[8:9]
	s_mov_b32 s11, 0x3c545cb7
	s_mov_b32 s8, 0x721ebbb4
	;; [unrolled: 1-line block ×3, first 2 shown]
	v_fma_f64 v[17:18], v[13:14], v[15:16], s[10:11]
	s_mov_b32 s10, 0x6a5dcb37
	s_mov_b32 s11, 0x3e5ade15
	s_delay_alu instid0(VALU_DEP_1) | instskip(SKIP_2) | instid1(VALU_DEP_1)
	v_add_f64 v[17:18], v[17:18], s[8:9]
	s_mov_b32 s8, 0x93f65eba
	s_mov_b32 s9, 0x3cdee6d8
	v_fma_f64 v[15:16], v[13:14], v[17:18], -v[15:16]
	s_delay_alu instid0(VALU_DEP_1) | instskip(SKIP_2) | instid1(VALU_DEP_1)
	v_add_f64 v[15:16], v[15:16], s[8:9]
	s_mov_b32 s8, 0xc297fbeb
	s_mov_b32 s9, 0xbd0a5022
	v_fma_f64 v[17:18], v[13:14], v[15:16], -v[17:18]
	;; [unrolled: 5-line block ×20, first 2 shown]
	s_delay_alu instid0(VALU_DEP_1) | instskip(SKIP_2) | instid1(SALU_CYCLE_1)
	v_add_f64 v[17:18], v[17:18], s[8:9]
	s_mov_b32 s8, 0x652b82fe
	s_mov_b32 s9, 0x3ff71547
	v_mul_f64 v[19:20], v[11:12], s[8:9]
	s_mov_b32 s8, 0xf3dde3dd
	s_mov_b32 s9, 0x3f859961
	s_delay_alu instid0(VALU_DEP_2) | instskip(NEXT) | instid1(VALU_DEP_2)
	v_fma_f64 v[15:16], v[13:14], v[17:18], -v[15:16]
	v_rndne_f64_e32 v[19:20], v[19:20]
	s_delay_alu instid0(VALU_DEP_2)
	v_add_f64 v[15:16], v[15:16], s[8:9]
	s_mov_b32 s8, 0xfefa39ef
	s_mov_b32 s9, 0xbfe62e42
	s_delay_alu instid0(VALU_DEP_2) | instid1(SALU_CYCLE_1)
	v_fma_f64 v[21:22], v[19:20], s[8:9], v[11:12]
	s_mov_b32 s8, 0x3b39803f
	s_mov_b32 s9, 0xbc7abc9e
	s_delay_alu instid0(VALU_DEP_2) | instskip(NEXT) | instid1(VALU_DEP_2)
	v_fma_f64 v[17:18], v[13:14], v[15:16], -v[17:18]
	v_fma_f64 v[21:22], v[19:20], s[8:9], v[21:22]
	s_mov_b32 s8, 0xf121b6f0
	s_mov_b32 s9, 0xbf984e9e
	v_cvt_i32_f64_e32 v19, v[19:20]
	s_delay_alu instid0(VALU_DEP_3)
	v_add_f64 v[17:18], v[17:18], s[8:9]
	s_mov_b32 s8, 0xfca7ab0c
	s_mov_b32 s9, 0x3e928af3
	s_delay_alu instid0(VALU_DEP_3) | instid1(SALU_CYCLE_1)
	v_fma_f64 v[23:24], v[21:22], s[10:11], s[8:9]
	s_mov_b32 s8, 0x623fde64
	s_mov_b32 s9, 0x3ec71dee
	s_delay_alu instid0(VALU_DEP_2) | instskip(NEXT) | instid1(VALU_DEP_2)
	v_fma_f64 v[15:16], v[13:14], v[17:18], -v[15:16]
	v_fma_f64 v[23:24], v[21:22], v[23:24], s[8:9]
	s_mov_b32 s8, 0xcea8a32d
	s_mov_b32 s9, 0x3fa93e8a
	s_delay_alu instid0(VALU_DEP_2) | instid1(SALU_CYCLE_1)
	v_add_f64 v[15:16], v[15:16], s[8:9]
	s_mov_b32 s8, 0x7c89e6b0
	s_mov_b32 s9, 0x3efa0199
	s_delay_alu instid0(VALU_DEP_2) | instid1(SALU_CYCLE_1)
	v_fma_f64 v[23:24], v[21:22], v[23:24], s[8:9]
	s_mov_b32 s8, 0x14761f6e
	s_mov_b32 s9, 0x3f2a01a0
	s_delay_alu instid0(VALU_DEP_2) | instskip(NEXT) | instid1(VALU_DEP_2)
	v_fma_f64 v[17:18], v[13:14], v[15:16], -v[17:18]
	v_fma_f64 v[23:24], v[21:22], v[23:24], s[8:9]
	s_mov_b32 s8, 0x342d06ea
	s_mov_b32 s9, 0xbfb84b70
	s_delay_alu instid0(VALU_DEP_2) | instid1(SALU_CYCLE_1)
	v_add_f64 v[17:18], v[17:18], s[8:9]
	s_mov_b32 s8, 0x1852b7b0
	s_mov_b32 s9, 0x3f56c16c
	s_delay_alu instid0(VALU_DEP_2) | instid1(SALU_CYCLE_1)
	;; [unrolled: 13-line block ×4, first 2 shown]
	v_fma_f64 v[23:24], v[21:22], v[23:24], s[8:9]
	s_mov_b32 s8, 0x9035a22a
	s_mov_b32 s9, 0x3fe5a84e
	s_delay_alu instid0(VALU_DEP_2) | instskip(NEXT) | instid1(VALU_DEP_2)
	v_fma_f64 v[13:14], v[13:14], v[17:18], -v[15:16]
	v_fma_f64 v[17:18], v[21:22], v[23:24], 1.0
	s_delay_alu instid0(VALU_DEP_2) | instskip(NEXT) | instid1(VALU_DEP_2)
	v_add_f64 v[13:14], v[13:14], s[8:9]
	v_fma_f64 v[17:18], v[21:22], v[17:18], 1.0
	s_delay_alu instid0(VALU_DEP_2) | instskip(NEXT) | instid1(VALU_DEP_2)
	v_add_f64 v[13:14], v[13:14], -v[15:16]
	v_ldexp_f64 v[15:16], v[17:18], v19
	s_delay_alu instid0(VALU_DEP_2) | instskip(NEXT) | instid1(VALU_DEP_2)
	v_mul_f64 v[13:14], v[13:14], 0.5
	v_cndmask_b32_e32 v16, 0x7ff00000, v16, vcc_lo
	s_delay_alu instid0(VALU_DEP_3) | instskip(NEXT) | instid1(VALU_DEP_1)
	v_cndmask_b32_e32 v15, 0, v15, vcc_lo
	v_mul_f64 v[13:14], v[15:16], v[13:14]
.LBB7_73:
	s_and_not1_saveexec_b32 s8, s0
	s_cbranch_execz .LBB7_75
; %bb.74:
	v_div_scale_f64 v[13:14], null, v[11:12], v[11:12], 0x40400000
	v_div_scale_f64 v[19:20], vcc_lo, 0x40400000, v[11:12], 0x40400000
	s_mov_b32 s10, 0x66119130
	s_mov_b32 s11, 0xbc5646da
	;; [unrolled: 1-line block ×4, first 2 shown]
	v_cmp_nlt_f64_e64 s0, 0x40900000, v[11:12]
	s_delay_alu instid0(VALU_DEP_3) | instskip(SKIP_2) | instid1(VALU_DEP_1)
	v_rcp_f64_e32 v[15:16], v[13:14]
	s_waitcnt_depctr 0xfff
	v_fma_f64 v[17:18], -v[13:14], v[15:16], 1.0
	v_fma_f64 v[15:16], v[15:16], v[17:18], v[15:16]
	s_delay_alu instid0(VALU_DEP_1) | instskip(NEXT) | instid1(VALU_DEP_1)
	v_fma_f64 v[17:18], -v[13:14], v[15:16], 1.0
	v_fma_f64 v[15:16], v[15:16], v[17:18], v[15:16]
	s_delay_alu instid0(VALU_DEP_1) | instskip(NEXT) | instid1(VALU_DEP_1)
	v_mul_f64 v[17:18], v[19:20], v[15:16]
	v_fma_f64 v[13:14], -v[13:14], v[17:18], v[19:20]
	s_delay_alu instid0(VALU_DEP_1) | instskip(SKIP_1) | instid1(VALU_DEP_2)
	v_div_fmas_f64 v[13:14], v[13:14], v[15:16], v[17:18]
	v_cmp_gt_f64_e32 vcc_lo, 0x10000000, v[11:12]
	v_div_fixup_f64 v[13:14], v[13:14], v[11:12], 0x40400000
	v_cndmask_b32_e64 v25, 0, 1, vcc_lo
	s_delay_alu instid0(VALU_DEP_1) | instskip(NEXT) | instid1(VALU_DEP_1)
	v_lshlrev_b32_e32 v25, 8, v25
	v_ldexp_f64 v[25:26], v[11:12], v25
	s_delay_alu instid0(VALU_DEP_4) | instskip(NEXT) | instid1(VALU_DEP_2)
	v_add_f64 v[13:14], v[13:14], -2.0
	v_rsq_f64_e32 v[27:28], v[25:26]
	s_delay_alu instid0(VALU_DEP_1)
	v_fma_f64 v[15:16], v[13:14], s[12:13], s[10:11]
	s_mov_b32 s13, 0x3c60adb7
	s_mov_b32 s10, 0x12d98421
	;; [unrolled: 1-line block ×3, first 2 shown]
	s_waitcnt_depctr 0xfff
	v_mul_f64 v[29:30], v[25:26], v[27:28]
	v_mul_f64 v[27:28], v[27:28], 0.5
	v_fma_f64 v[17:18], v[13:14], v[15:16], s[12:13]
	s_mov_b32 s12, 0x6a5dcb37
	s_mov_b32 s13, 0x3e5ade15
	s_delay_alu instid0(VALU_DEP_2) | instskip(NEXT) | instid1(VALU_DEP_2)
	v_fma_f64 v[31:32], -v[27:28], v[29:30], 0.5
	v_add_f64 v[17:18], v[17:18], s[10:11]
	s_mov_b32 s10, 0x76041cd
	s_mov_b32 s11, 0x3c83f3dd
	s_delay_alu instid0(VALU_DEP_2) | instskip(SKIP_1) | instid1(VALU_DEP_3)
	v_fma_f64 v[29:30], v[29:30], v[31:32], v[29:30]
	v_fma_f64 v[27:28], v[27:28], v[31:32], v[27:28]
	v_fma_f64 v[15:16], v[13:14], v[17:18], -v[15:16]
	s_delay_alu instid0(VALU_DEP_3) | instskip(NEXT) | instid1(VALU_DEP_2)
	v_fma_f64 v[31:32], -v[29:30], v[29:30], v[25:26]
	v_add_f64 v[15:16], v[15:16], s[10:11]
	s_mov_b32 s10, 0xabd21fe4
	s_mov_b32 s11, 0xbcb4600b
	s_delay_alu instid0(VALU_DEP_1) | instskip(NEXT) | instid1(VALU_DEP_1)
	v_fma_f64 v[17:18], v[13:14], v[15:16], -v[17:18]
	v_add_f64 v[17:18], v[17:18], s[10:11]
	s_mov_b32 s10, 0xd908de38
	s_mov_b32 s11, 0xbcb8aee7
	s_delay_alu instid0(VALU_DEP_1) | instskip(NEXT) | instid1(VALU_DEP_1)
	v_fma_f64 v[15:16], v[13:14], v[17:18], -v[15:16]
	;; [unrolled: 5-line block ×14, first 2 shown]
	v_add_f64 v[15:16], v[15:16], s[10:11]
	s_mov_b32 s10, 0x652b82fe
	s_mov_b32 s11, 0x3ff71547
	s_delay_alu instid0(SALU_CYCLE_1) | instskip(SKIP_2) | instid1(VALU_DEP_2)
	v_mul_f64 v[19:20], v[11:12], s[10:11]
	s_mov_b32 s10, 0xa9225b87
	s_mov_b32 s11, 0x3e2d2c64
	v_fma_f64 v[17:18], v[13:14], v[15:16], -v[17:18]
	s_delay_alu instid0(VALU_DEP_2) | instskip(NEXT) | instid1(VALU_DEP_2)
	v_rndne_f64_e32 v[19:20], v[19:20]
	v_add_f64 v[17:18], v[17:18], s[10:11]
	s_mov_b32 s10, 0xfefa39ef
	s_mov_b32 s11, 0xbfe62e42
	s_delay_alu instid0(VALU_DEP_2) | instid1(SALU_CYCLE_1)
	v_fma_f64 v[21:22], v[19:20], s[10:11], v[11:12]
	s_mov_b32 s10, 0x3b39803f
	s_mov_b32 s11, 0xbc7abc9e
	s_delay_alu instid0(VALU_DEP_2) | instskip(NEXT) | instid1(VALU_DEP_2)
	v_fma_f64 v[15:16], v[13:14], v[17:18], -v[15:16]
	v_fma_f64 v[21:22], v[19:20], s[10:11], v[21:22]
	s_mov_b32 s10, 0x80d6d56d
	s_mov_b32 s11, 0x3e585692
	s_delay_alu instid0(VALU_DEP_2) | instid1(SALU_CYCLE_1)
	v_add_f64 v[15:16], v[15:16], s[10:11]
	s_mov_b32 s10, 0xfca7ab0c
	s_mov_b32 s11, 0x3e928af3
	s_delay_alu instid0(VALU_DEP_2) | instid1(SALU_CYCLE_1)
	v_fma_f64 v[23:24], v[21:22], s[12:13], s[10:11]
	s_mov_b32 s10, 0x623fde64
	s_mov_b32 s11, 0x3ec71dee
	s_delay_alu instid0(VALU_DEP_2) | instskip(NEXT) | instid1(VALU_DEP_2)
	v_fma_f64 v[17:18], v[13:14], v[15:16], -v[17:18]
	v_fma_f64 v[23:24], v[21:22], v[23:24], s[10:11]
	s_mov_b32 s10, 0xd9cd616e
	s_mov_b32 s11, 0x3e8b8007
	s_delay_alu instid0(VALU_DEP_2) | instid1(SALU_CYCLE_1)
	;; [unrolled: 13-line block ×5, first 2 shown]
	v_add_f64 v[15:16], v[15:16], s[10:11]
	s_mov_b32 s10, 11
	s_mov_b32 s11, 0x3fe00000
	s_delay_alu instid0(VALU_DEP_2) | instid1(SALU_CYCLE_1)
	v_fma_f64 v[23:24], v[21:22], v[23:24], s[10:11]
	s_mov_b32 s10, 0xaca809cb
	s_mov_b32 s11, 0x3fe9be62
	s_delay_alu instid0(VALU_DEP_2) | instskip(SKIP_2) | instid1(VALU_DEP_4)
	v_fma_f64 v[13:14], v[13:14], v[15:16], -v[17:18]
	v_fma_f64 v[15:16], v[31:32], v[27:28], v[29:30]
	v_cvt_i32_f64_e32 v29, v[19:20]
	v_fma_f64 v[23:24], v[21:22], v[23:24], 1.0
	s_delay_alu instid0(VALU_DEP_4) | instskip(NEXT) | instid1(VALU_DEP_4)
	v_add_f64 v[13:14], v[13:14], s[10:11]
	v_fma_f64 v[19:20], -v[15:16], v[15:16], v[25:26]
	s_delay_alu instid0(VALU_DEP_3) | instskip(NEXT) | instid1(VALU_DEP_3)
	v_fma_f64 v[21:22], v[21:22], v[23:24], 1.0
	v_add_f64 v[13:14], v[13:14], -v[17:18]
	s_delay_alu instid0(VALU_DEP_3) | instskip(SKIP_4) | instid1(VALU_DEP_4)
	v_fma_f64 v[15:16], v[19:20], v[27:28], v[15:16]
	v_cndmask_b32_e64 v19, 0, 0xffffff80, vcc_lo
	v_cmp_class_f64_e64 vcc_lo, v[25:26], 0x260
	v_ldexp_f64 v[17:18], v[21:22], v29
	v_mul_f64 v[13:14], v[13:14], 0.5
	v_ldexp_f64 v[15:16], v[15:16], v19
	s_delay_alu instid0(VALU_DEP_3) | instskip(NEXT) | instid1(VALU_DEP_4)
	v_cndmask_b32_e64 v18, 0x7ff00000, v18, s0
	v_cndmask_b32_e64 v17, 0, v17, s0
	s_delay_alu instid0(VALU_DEP_1) | instskip(NEXT) | instid1(VALU_DEP_4)
	v_mul_f64 v[13:14], v[17:18], v[13:14]
	v_dual_cndmask_b32 v16, v16, v26 :: v_dual_cndmask_b32 v15, v15, v25
	s_delay_alu instid0(VALU_DEP_1) | instskip(NEXT) | instid1(VALU_DEP_1)
	v_div_scale_f64 v[17:18], null, v[15:16], v[15:16], v[13:14]
	v_rcp_f64_e32 v[19:20], v[17:18]
	s_waitcnt_depctr 0xfff
	v_fma_f64 v[21:22], -v[17:18], v[19:20], 1.0
	s_delay_alu instid0(VALU_DEP_1) | instskip(NEXT) | instid1(VALU_DEP_1)
	v_fma_f64 v[19:20], v[19:20], v[21:22], v[19:20]
	v_fma_f64 v[21:22], -v[17:18], v[19:20], 1.0
	s_delay_alu instid0(VALU_DEP_1) | instskip(SKIP_1) | instid1(VALU_DEP_1)
	v_fma_f64 v[19:20], v[19:20], v[21:22], v[19:20]
	v_div_scale_f64 v[21:22], vcc_lo, v[13:14], v[15:16], v[13:14]
	v_mul_f64 v[23:24], v[21:22], v[19:20]
	s_delay_alu instid0(VALU_DEP_1) | instskip(NEXT) | instid1(VALU_DEP_1)
	v_fma_f64 v[17:18], -v[17:18], v[23:24], v[21:22]
	v_div_fmas_f64 v[17:18], v[17:18], v[19:20], v[23:24]
	s_delay_alu instid0(VALU_DEP_1)
	v_div_fixup_f64 v[13:14], v[17:18], v[15:16], v[13:14]
.LBB7_75:
	s_or_b32 exec_lo, exec_lo, s8
	s_delay_alu instid0(VALU_DEP_2)
	v_frexp_mant_f64_e32 v[15:16], v[7:8]
	s_mov_b32 s9, 0x3fe55555
	s_mov_b32 s8, 0x55555555
	v_mov_b32_e32 v17, 0
	s_mov_b32 s10, 0x6b47b09a
	s_mov_b32 s12, 0xbf559e2b
	;; [unrolled: 1-line block ×4, first 2 shown]
	v_fma_f64 v[11:12], v[11:12], v[11:12], -2.0
	s_delay_alu instid0(VALU_DEP_3) | instskip(SKIP_2) | instid1(VALU_DEP_1)
	v_cmp_gt_f64_e32 vcc_lo, s[8:9], v[15:16]
	s_mov_b32 s8, 0x55555780
	v_cndmask_b32_e64 v18, 0x3ff00000, 2.0, vcc_lo
	v_mul_f64 v[15:16], v[15:16], v[17:18]
	s_delay_alu instid0(VALU_DEP_1) | instskip(SKIP_1) | instid1(VALU_DEP_2)
	v_add_f64 v[17:18], v[15:16], 1.0
	v_add_f64 v[23:24], v[15:16], -1.0
	v_rcp_f64_e32 v[19:20], v[17:18]
	v_add_f64 v[25:26], v[17:18], -1.0
	s_delay_alu instid0(VALU_DEP_1) | instskip(SKIP_2) | instid1(VALU_DEP_1)
	v_add_f64 v[15:16], v[15:16], -v[25:26]
	s_waitcnt_depctr 0xfff
	v_fma_f64 v[21:22], -v[17:18], v[19:20], 1.0
	v_fma_f64 v[19:20], v[21:22], v[19:20], v[19:20]
	s_delay_alu instid0(VALU_DEP_1) | instskip(NEXT) | instid1(VALU_DEP_1)
	v_fma_f64 v[21:22], -v[17:18], v[19:20], 1.0
	v_fma_f64 v[19:20], v[21:22], v[19:20], v[19:20]
	s_delay_alu instid0(VALU_DEP_1) | instskip(NEXT) | instid1(VALU_DEP_1)
	v_mul_f64 v[21:22], v[23:24], v[19:20]
	v_mul_f64 v[27:28], v[17:18], v[21:22]
	s_delay_alu instid0(VALU_DEP_1) | instskip(NEXT) | instid1(VALU_DEP_1)
	v_fma_f64 v[17:18], v[21:22], v[17:18], -v[27:28]
	v_fma_f64 v[15:16], v[21:22], v[15:16], v[17:18]
	s_delay_alu instid0(VALU_DEP_1) | instskip(NEXT) | instid1(VALU_DEP_1)
	v_add_f64 v[17:18], v[27:28], v[15:16]
	v_add_f64 v[25:26], v[23:24], -v[17:18]
	v_add_f64 v[27:28], v[17:18], -v[27:28]
	s_delay_alu instid0(VALU_DEP_2) | instskip(NEXT) | instid1(VALU_DEP_2)
	v_add_f64 v[23:24], v[23:24], -v[25:26]
	v_add_f64 v[15:16], v[27:28], -v[15:16]
	v_frexp_exp_i32_f64_e32 v27, v[7:8]
	s_delay_alu instid0(VALU_DEP_3) | instskip(NEXT) | instid1(VALU_DEP_1)
	v_add_f64 v[17:18], v[23:24], -v[17:18]
	v_add_f64 v[15:16], v[15:16], v[17:18]
	s_delay_alu instid0(VALU_DEP_1) | instskip(NEXT) | instid1(VALU_DEP_1)
	v_add_f64 v[15:16], v[25:26], v[15:16]
	v_mul_f64 v[15:16], v[19:20], v[15:16]
	s_delay_alu instid0(VALU_DEP_1) | instskip(NEXT) | instid1(VALU_DEP_1)
	v_add_f64 v[17:18], v[21:22], v[15:16]
	v_mul_f64 v[19:20], v[17:18], v[17:18]
	s_delay_alu instid0(VALU_DEP_1) | instskip(SKIP_3) | instid1(VALU_DEP_2)
	v_fma_f64 v[23:24], v[19:20], s[12:13], s[10:11]
	s_mov_b32 s10, 0xd7f4df2e
	s_mov_b32 s11, 0x3fc7474d
	v_mul_f64 v[25:26], v[17:18], v[19:20]
	v_fma_f64 v[23:24], v[19:20], v[23:24], s[10:11]
	s_mov_b32 s10, 0x16291751
	s_mov_b32 s11, 0x3fcc71c0
	s_delay_alu instid0(VALU_DEP_1) | instid1(SALU_CYCLE_1)
	v_fma_f64 v[23:24], v[19:20], v[23:24], s[10:11]
	s_mov_b32 s10, 0x9b27acf1
	s_mov_b32 s11, 0x3fd24924
	s_delay_alu instid0(VALU_DEP_1) | instid1(SALU_CYCLE_1)
	;; [unrolled: 4-line block ×3, first 2 shown]
	v_fma_f64 v[23:24], v[19:20], v[23:24], s[10:11]
	s_mov_b32 s11, 0x3ca3cee1
	s_mov_b32 s10, 0xe6a7fd77
	s_delay_alu instid0(VALU_DEP_1) | instskip(SKIP_4) | instid1(VALU_DEP_3)
	v_fma_f64 v[19:20], v[19:20], v[23:24], s[8:9]
	v_ldexp_f64 v[23:24], v[17:18], 1
	v_add_f64 v[17:18], v[17:18], -v[21:22]
	s_mov_b32 s8, 0xc384c2aa
	s_mov_b32 s9, 0x3d27fb0a
	v_mul_f64 v[19:20], v[25:26], v[19:20]
	v_subrev_co_ci_u32_e32 v25, vcc_lo, 0, v27, vcc_lo
	v_fma_f64 v[27:28], v[11:12], s[10:11], s[8:9]
	s_mov_b32 s8, 0xfefa39ef
	s_mov_b32 s9, 0x3fe62e42
	s_delay_alu instid0(VALU_DEP_2) | instskip(SKIP_4) | instid1(VALU_DEP_4)
	v_cvt_f64_i32_e32 v[25:26], v25
	v_add_f64 v[15:16], v[15:16], -v[17:18]
	s_mov_b32 s11, 0xbca3cee1
	v_cmp_eq_f64_e32 vcc_lo, 0x7ff00000, v[7:8]
	v_add_f64 v[21:22], v[23:24], v[19:20]
	v_mul_f64 v[29:30], v[25:26], s[8:9]
	s_delay_alu instid0(VALU_DEP_4) | instskip(NEXT) | instid1(VALU_DEP_3)
	v_ldexp_f64 v[15:16], v[15:16], 1
	v_add_f64 v[17:18], v[21:22], -v[23:24]
	v_fma_f64 v[23:24], v[11:12], v[27:28], s[10:11]
	s_delay_alu instid0(VALU_DEP_4) | instskip(SKIP_2) | instid1(VALU_DEP_3)
	v_fma_f64 v[31:32], v[25:26], s[8:9], -v[29:30]
	s_mov_b32 s8, 0x47512144
	s_mov_b32 s9, 0x3da6c25c
	v_add_f64 v[17:18], v[19:20], -v[17:18]
	s_delay_alu instid0(VALU_DEP_3)
	v_add_f64 v[19:20], v[23:24], s[8:9]
	s_mov_b32 s8, 0x3b39803f
	s_mov_b32 s9, 0x3c7abc9e
	s_delay_alu instid0(VALU_DEP_3) | instid1(SALU_CYCLE_1)
	v_fma_f64 v[23:24], v[25:26], s[8:9], v[31:32]
	s_mov_b32 s8, 0x67e58a13
	s_mov_b32 s9, 0x3e205c13
	s_delay_alu instid0(VALU_DEP_3) | instskip(NEXT) | instid1(VALU_DEP_3)
	v_add_f64 v[15:16], v[15:16], v[17:18]
	v_fma_f64 v[17:18], v[11:12], v[19:20], -v[27:28]
	s_delay_alu instid0(VALU_DEP_3) | instskip(NEXT) | instid1(VALU_DEP_3)
	v_add_f64 v[25:26], v[29:30], v[23:24]
	v_add_f64 v[27:28], v[21:22], v[15:16]
	s_delay_alu instid0(VALU_DEP_3) | instskip(SKIP_2) | instid1(VALU_DEP_3)
	v_add_f64 v[17:18], v[17:18], s[8:9]
	s_mov_b32 s8, 0xe7f95efc
	s_mov_b32 s9, 0x3e9102bc
	v_add_f64 v[29:30], v[25:26], -v[29:30]
	s_delay_alu instid0(VALU_DEP_3) | instskip(NEXT) | instid1(VALU_DEP_3)
	v_add_f64 v[31:32], v[25:26], v[27:28]
	v_fma_f64 v[19:20], v[11:12], v[17:18], -v[19:20]
	v_add_f64 v[21:22], v[27:28], -v[21:22]
	s_delay_alu instid0(VALU_DEP_4) | instskip(NEXT) | instid1(VALU_DEP_4)
	v_add_f64 v[23:24], v[23:24], -v[29:30]
	v_add_f64 v[33:34], v[31:32], -v[25:26]
	s_delay_alu instid0(VALU_DEP_4) | instskip(NEXT) | instid1(VALU_DEP_4)
	v_add_f64 v[19:20], v[19:20], s[8:9]
	v_add_f64 v[15:16], v[15:16], -v[21:22]
	s_mov_b32 s8, 0xfe8cfca0
	s_mov_b32 s9, 0x3ef7f900
	s_delay_alu instid0(VALU_DEP_3) | instskip(NEXT) | instid1(VALU_DEP_3)
	v_add_f64 v[35:36], v[31:32], -v[33:34]
	v_fma_f64 v[17:18], v[11:12], v[19:20], -v[17:18]
	v_add_f64 v[21:22], v[27:28], -v[33:34]
	s_delay_alu instid0(VALU_DEP_4) | instskip(NEXT) | instid1(VALU_DEP_4)
	v_add_f64 v[27:28], v[23:24], v[15:16]
	v_add_f64 v[25:26], v[25:26], -v[35:36]
	s_delay_alu instid0(VALU_DEP_4) | instskip(SKIP_2) | instid1(VALU_DEP_2)
	v_add_f64 v[17:18], v[17:18], s[8:9]
	s_mov_b32 s8, 0x75633d73
	s_mov_b32 s9, 0x3f54b82e
	v_add_f64 v[21:22], v[21:22], v[25:26]
	s_delay_alu instid0(VALU_DEP_2) | instskip(SKIP_1) | instid1(VALU_DEP_3)
	v_fma_f64 v[19:20], v[11:12], v[17:18], -v[19:20]
	v_add_f64 v[25:26], v[27:28], -v[23:24]
	v_add_f64 v[21:22], v[27:28], v[21:22]
	s_delay_alu instid0(VALU_DEP_3) | instskip(NEXT) | instid1(VALU_DEP_3)
	v_add_f64 v[19:20], v[19:20], s[8:9]
	v_add_f64 v[27:28], v[27:28], -v[25:26]
	v_add_f64 v[15:16], v[15:16], -v[25:26]
	s_mov_b32 s8, 0x554a9085
	s_mov_b32 s9, 0x3fa26bf6
	s_delay_alu instid0(VALU_DEP_4) | instskip(NEXT) | instid1(VALU_DEP_4)
	v_add_f64 v[29:30], v[31:32], v[21:22]
	v_fma_f64 v[17:18], v[11:12], v[19:20], -v[17:18]
	s_delay_alu instid0(VALU_DEP_4) | instskip(NEXT) | instid1(VALU_DEP_3)
	v_add_f64 v[23:24], v[23:24], -v[27:28]
	v_add_f64 v[25:26], v[29:30], -v[31:32]
	s_delay_alu instid0(VALU_DEP_3) | instskip(NEXT) | instid1(VALU_DEP_3)
	v_add_f64 v[17:18], v[17:18], s[8:9]
	v_add_f64 v[15:16], v[15:16], v[23:24]
	s_mov_b32 s8, 0x81213db9
	s_mov_b32 s9, 0x3fd608d8
	s_delay_alu instid0(VALU_DEP_3) | instskip(NEXT) | instid1(VALU_DEP_3)
	v_add_f64 v[21:22], v[21:22], -v[25:26]
	v_fma_f64 v[19:20], v[11:12], v[17:18], -v[19:20]
	s_delay_alu instid0(VALU_DEP_2) | instskip(NEXT) | instid1(VALU_DEP_2)
	v_add_f64 v[15:16], v[15:16], v[21:22]
	v_add_f64 v[19:20], v[19:20], s[8:9]
	s_mov_b32 s8, 0xe9d2f61f
	s_mov_b32 s9, 0xbfe12166
	s_delay_alu instid0(VALU_DEP_2) | instskip(NEXT) | instid1(VALU_DEP_2)
	v_add_f64 v[15:16], v[29:30], v[15:16]
	v_fma_f64 v[11:12], v[11:12], v[19:20], -v[17:18]
	s_delay_alu instid0(VALU_DEP_2) | instskip(SKIP_1) | instid1(VALU_DEP_3)
	v_dual_cndmask_b32 v16, v16, v8 :: v_dual_cndmask_b32 v15, v15, v7
	v_cmp_neq_f64_e32 vcc_lo, 0, v[7:8]
	v_add_f64 v[7:8], v[11:12], s[8:9]
	s_delay_alu instid0(VALU_DEP_3) | instskip(NEXT) | instid1(VALU_DEP_4)
	v_cndmask_b32_e32 v12, 0xfff00000, v16, vcc_lo
	v_cndmask_b32_e32 v11, 0, v15, vcc_lo
	s_delay_alu instid0(VALU_DEP_3) | instskip(NEXT) | instid1(VALU_DEP_2)
	v_add_f64 v[7:8], v[7:8], -v[17:18]
	v_mul_f64 v[11:12], v[11:12], v[13:14]
	s_delay_alu instid0(VALU_DEP_1)
	v_fma_f64 v[7:8], v[7:8], 0.5, -v[11:12]
                                        ; implicit-def: $vgpr11_vgpr12
.LBB7_76:
	s_and_not1_saveexec_b32 s3, s3
	s_cbranch_execz .LBB7_78
; %bb.77:
	v_div_scale_f64 v[7:8], null, v[11:12], v[11:12], 0x40200000
	v_div_scale_f64 v[17:18], vcc_lo, 0x40200000, v[11:12], 0x40200000
	s_mov_b32 s8, 0x93812603
	s_mov_b32 s9, 0xbc72fecc
	;; [unrolled: 1-line block ×4, first 2 shown]
	v_cmp_nlt_f64_e64 s0, 0x4090cc00, v[11:12]
	s_delay_alu instid0(VALU_DEP_3) | instskip(SKIP_2) | instid1(VALU_DEP_1)
	v_rcp_f64_e32 v[13:14], v[7:8]
	s_waitcnt_depctr 0xfff
	v_fma_f64 v[15:16], -v[7:8], v[13:14], 1.0
	v_fma_f64 v[13:14], v[13:14], v[15:16], v[13:14]
	s_delay_alu instid0(VALU_DEP_1) | instskip(NEXT) | instid1(VALU_DEP_1)
	v_fma_f64 v[15:16], -v[7:8], v[13:14], 1.0
	v_fma_f64 v[13:14], v[13:14], v[15:16], v[13:14]
	s_delay_alu instid0(VALU_DEP_1) | instskip(NEXT) | instid1(VALU_DEP_1)
	v_mul_f64 v[15:16], v[17:18], v[13:14]
	v_fma_f64 v[7:8], -v[7:8], v[15:16], v[17:18]
	s_delay_alu instid0(VALU_DEP_1) | instskip(SKIP_1) | instid1(VALU_DEP_2)
	v_div_fmas_f64 v[7:8], v[7:8], v[13:14], v[15:16]
	v_cmp_gt_f64_e32 vcc_lo, 0x10000000, v[11:12]
	v_div_fixup_f64 v[7:8], v[7:8], v[11:12], 0x40200000
	v_cndmask_b32_e64 v23, 0, 1, vcc_lo
	s_delay_alu instid0(VALU_DEP_1) | instskip(NEXT) | instid1(VALU_DEP_1)
	v_lshlrev_b32_e32 v23, 8, v23
	v_ldexp_f64 v[23:24], v[11:12], v23
	s_delay_alu instid0(VALU_DEP_4) | instskip(NEXT) | instid1(VALU_DEP_2)
	v_add_f64 v[7:8], v[7:8], -2.0
	v_rsq_f64_e32 v[25:26], v[23:24]
	s_delay_alu instid0(VALU_DEP_1)
	v_fma_f64 v[13:14], v[7:8], s[10:11], s[8:9]
	s_mov_b32 s11, 0xbc5871a5
	s_mov_b32 s8, 0x41a8cdf4
	;; [unrolled: 1-line block ×3, first 2 shown]
	s_waitcnt_depctr 0xfff
	v_mul_f64 v[27:28], v[23:24], v[25:26]
	v_mul_f64 v[25:26], v[25:26], 0.5
	v_fma_f64 v[15:16], v[7:8], v[13:14], s[10:11]
	s_mov_b32 s10, 0x6a5dcb37
	s_mov_b32 s11, 0x3e5ade15
	s_delay_alu instid0(VALU_DEP_2) | instskip(NEXT) | instid1(VALU_DEP_2)
	v_fma_f64 v[29:30], -v[25:26], v[27:28], 0.5
	v_add_f64 v[15:16], v[15:16], s[8:9]
	s_mov_b32 s8, 0x74d77641
	s_mov_b32 s9, 0xbca82f94
	s_delay_alu instid0(VALU_DEP_2) | instskip(SKIP_1) | instid1(VALU_DEP_3)
	v_fma_f64 v[27:28], v[27:28], v[29:30], v[27:28]
	v_fma_f64 v[25:26], v[25:26], v[29:30], v[25:26]
	v_fma_f64 v[13:14], v[7:8], v[15:16], -v[13:14]
	s_delay_alu instid0(VALU_DEP_3) | instskip(NEXT) | instid1(VALU_DEP_2)
	v_fma_f64 v[29:30], -v[27:28], v[27:28], v[23:24]
	v_add_f64 v[13:14], v[13:14], s[8:9]
	s_mov_b32 s8, 0x6b94785b
	s_mov_b32 s9, 0x3cc3dbf9
	s_delay_alu instid0(VALU_DEP_1) | instskip(NEXT) | instid1(VALU_DEP_1)
	v_fma_f64 v[15:16], v[7:8], v[13:14], -v[15:16]
	v_add_f64 v[15:16], v[15:16], s[8:9]
	s_mov_b32 s8, 0xecfadd36
	s_mov_b32 s9, 0xbce0a690
	s_delay_alu instid0(VALU_DEP_1) | instskip(NEXT) | instid1(VALU_DEP_1)
	v_fma_f64 v[13:14], v[7:8], v[15:16], -v[13:14]
	;; [unrolled: 5-line block ×14, first 2 shown]
	v_add_f64 v[13:14], v[13:14], s[8:9]
	s_mov_b32 s8, 0x652b82fe
	s_mov_b32 s9, 0xbff71547
	s_delay_alu instid0(SALU_CYCLE_1) | instskip(SKIP_2) | instid1(VALU_DEP_2)
	v_mul_f64 v[17:18], v[11:12], s[8:9]
	s_mov_b32 s8, 0x81e3e46f
	s_mov_b32 s9, 0x3e929159
	v_fma_f64 v[15:16], v[7:8], v[13:14], -v[15:16]
	s_delay_alu instid0(VALU_DEP_2) | instskip(NEXT) | instid1(VALU_DEP_2)
	v_rndne_f64_e32 v[17:18], v[17:18]
	v_add_f64 v[15:16], v[15:16], s[8:9]
	s_mov_b32 s8, 0xfefa39ef
	s_mov_b32 s9, 0xbfe62e42
	s_delay_alu instid0(VALU_DEP_2) | instid1(SALU_CYCLE_1)
	v_fma_f64 v[19:20], v[17:18], s[8:9], -v[11:12]
	s_mov_b32 s8, 0x3b39803f
	s_mov_b32 s9, 0xbc7abc9e
	v_cndmask_b32_e64 v11, 0, 0xffffff80, vcc_lo
	v_cmp_class_f64_e64 vcc_lo, v[23:24], 0x260
	s_delay_alu instid0(VALU_DEP_4) | instskip(NEXT) | instid1(VALU_DEP_4)
	v_fma_f64 v[13:14], v[7:8], v[15:16], -v[13:14]
	v_fma_f64 v[19:20], v[17:18], s[8:9], v[19:20]
	s_mov_b32 s8, 0x7f18d3a9
	s_mov_b32 s9, 0xbebebb54
	s_delay_alu instid0(VALU_DEP_2) | instid1(SALU_CYCLE_1)
	v_add_f64 v[13:14], v[13:14], s[8:9]
	s_mov_b32 s8, 0xfca7ab0c
	s_mov_b32 s9, 0x3e928af3
	s_delay_alu instid0(VALU_DEP_2) | instid1(SALU_CYCLE_1)
	v_fma_f64 v[21:22], v[19:20], s[10:11], s[8:9]
	s_mov_b32 s8, 0x623fde64
	s_mov_b32 s9, 0x3ec71dee
	s_delay_alu instid0(VALU_DEP_2) | instskip(NEXT) | instid1(VALU_DEP_2)
	v_fma_f64 v[15:16], v[7:8], v[13:14], -v[15:16]
	v_fma_f64 v[21:22], v[19:20], v[21:22], s[8:9]
	s_mov_b32 s8, 0xcc7470a9
	s_mov_b32 s9, 0x3eed413f
	s_delay_alu instid0(VALU_DEP_2) | instid1(SALU_CYCLE_1)
	v_add_f64 v[15:16], v[15:16], s[8:9]
	s_mov_b32 s8, 0x7c89e6b0
	s_mov_b32 s9, 0x3efa0199
	s_delay_alu instid0(VALU_DEP_2) | instid1(SALU_CYCLE_1)
	v_fma_f64 v[21:22], v[19:20], v[21:22], s[8:9]
	s_mov_b32 s8, 0x14761f6e
	s_mov_b32 s9, 0x3f2a01a0
	s_delay_alu instid0(VALU_DEP_2) | instskip(NEXT) | instid1(VALU_DEP_2)
	v_fma_f64 v[13:14], v[7:8], v[15:16], -v[13:14]
	v_fma_f64 v[21:22], v[19:20], v[21:22], s[8:9]
	s_mov_b32 s8, 0xe7889f42
	s_mov_b32 s9, 0xbf20d797
	s_delay_alu instid0(VALU_DEP_2) | instid1(SALU_CYCLE_1)
	v_add_f64 v[13:14], v[13:14], s[8:9]
	s_mov_b32 s8, 0x1852b7b0
	s_mov_b32 s9, 0x3f56c16c
	s_delay_alu instid0(VALU_DEP_2) | instid1(SALU_CYCLE_1)
	v_fma_f64 v[21:22], v[19:20], v[21:22], s[8:9]
	s_mov_b32 s8, 0x11122322
	s_mov_b32 s9, 0x3f811111
	s_delay_alu instid0(VALU_DEP_2) | instskip(NEXT) | instid1(VALU_DEP_2)
	v_fma_f64 v[15:16], v[7:8], v[13:14], -v[15:16]
	v_fma_f64 v[21:22], v[19:20], v[21:22], s[8:9]
	s_mov_b32 s8, 0xfca79342
	s_mov_b32 s9, 0x3f59b891
	s_delay_alu instid0(VALU_DEP_2) | instid1(SALU_CYCLE_1)
	v_add_f64 v[15:16], v[15:16], s[8:9]
	s_mov_b32 s8, 0x555502a1
	s_mov_b32 s9, 0x3fa55555
	s_delay_alu instid0(VALU_DEP_2) | instid1(SALU_CYCLE_1)
	v_fma_f64 v[21:22], v[19:20], v[21:22], s[8:9]
	s_mov_b32 s8, 0x55555511
	s_mov_b32 s9, 0x3fc55555
	s_delay_alu instid0(VALU_DEP_2) | instskip(NEXT) | instid1(VALU_DEP_2)
	v_fma_f64 v[13:14], v[7:8], v[15:16], -v[13:14]
	v_fma_f64 v[21:22], v[19:20], v[21:22], s[8:9]
	s_mov_b32 s8, 0x2d4ff71e
	s_mov_b32 s9, 0xbfa019f7
	s_delay_alu instid0(VALU_DEP_2) | instid1(SALU_CYCLE_1)
	v_add_f64 v[13:14], v[13:14], s[8:9]
	s_mov_b32 s8, 11
	s_mov_b32 s9, 0x3fe00000
	s_delay_alu instid0(VALU_DEP_2) | instid1(SALU_CYCLE_1)
	v_fma_f64 v[21:22], v[19:20], v[21:22], s[8:9]
	s_mov_b32 s8, 0x9f4e6907
	s_mov_b32 s9, 0x400385bd
	s_delay_alu instid0(VALU_DEP_2) | instskip(SKIP_2) | instid1(VALU_DEP_4)
	v_fma_f64 v[7:8], v[7:8], v[13:14], -v[15:16]
	v_fma_f64 v[13:14], v[29:30], v[25:26], v[27:28]
	v_cvt_i32_f64_e32 v27, v[17:18]
	v_fma_f64 v[21:22], v[19:20], v[21:22], 1.0
	s_delay_alu instid0(VALU_DEP_4) | instskip(NEXT) | instid1(VALU_DEP_4)
	v_add_f64 v[7:8], v[7:8], s[8:9]
	v_fma_f64 v[17:18], -v[13:14], v[13:14], v[23:24]
	s_delay_alu instid0(VALU_DEP_3) | instskip(NEXT) | instid1(VALU_DEP_3)
	v_fma_f64 v[19:20], v[19:20], v[21:22], 1.0
	v_add_f64 v[7:8], v[7:8], -v[15:16]
	s_delay_alu instid0(VALU_DEP_3) | instskip(NEXT) | instid1(VALU_DEP_3)
	v_fma_f64 v[13:14], v[17:18], v[25:26], v[13:14]
	v_ldexp_f64 v[15:16], v[19:20], v27
	s_delay_alu instid0(VALU_DEP_3) | instskip(NEXT) | instid1(VALU_DEP_3)
	v_mul_f64 v[7:8], v[7:8], 0.5
	v_ldexp_f64 v[11:12], v[13:14], v11
	s_delay_alu instid0(VALU_DEP_3) | instskip(NEXT) | instid1(VALU_DEP_4)
	v_cndmask_b32_e64 v14, 0, v16, s0
	v_cndmask_b32_e64 v13, 0, v15, s0
	s_delay_alu instid0(VALU_DEP_1) | instskip(NEXT) | instid1(VALU_DEP_4)
	v_mul_f64 v[7:8], v[13:14], v[7:8]
	v_dual_cndmask_b32 v12, v12, v24 :: v_dual_cndmask_b32 v11, v11, v23
	s_delay_alu instid0(VALU_DEP_1) | instskip(NEXT) | instid1(VALU_DEP_1)
	v_div_scale_f64 v[13:14], null, v[11:12], v[11:12], v[7:8]
	v_rcp_f64_e32 v[15:16], v[13:14]
	s_waitcnt_depctr 0xfff
	v_fma_f64 v[17:18], -v[13:14], v[15:16], 1.0
	s_delay_alu instid0(VALU_DEP_1) | instskip(NEXT) | instid1(VALU_DEP_1)
	v_fma_f64 v[15:16], v[15:16], v[17:18], v[15:16]
	v_fma_f64 v[17:18], -v[13:14], v[15:16], 1.0
	s_delay_alu instid0(VALU_DEP_1) | instskip(SKIP_1) | instid1(VALU_DEP_1)
	v_fma_f64 v[15:16], v[15:16], v[17:18], v[15:16]
	v_div_scale_f64 v[17:18], vcc_lo, v[7:8], v[11:12], v[7:8]
	v_mul_f64 v[19:20], v[17:18], v[15:16]
	s_delay_alu instid0(VALU_DEP_1) | instskip(NEXT) | instid1(VALU_DEP_1)
	v_fma_f64 v[13:14], -v[13:14], v[19:20], v[17:18]
	v_div_fmas_f64 v[13:14], v[13:14], v[15:16], v[19:20]
	s_delay_alu instid0(VALU_DEP_1)
	v_div_fixup_f64 v[7:8], v[13:14], v[11:12], v[7:8]
.LBB7_78:
	s_or_b32 exec_lo, exec_lo, s3
.LBB7_79:
	s_delay_alu instid0(SALU_CYCLE_1)
	s_or_b32 exec_lo, exec_lo, s2
.LBB7_80:
	s_delay_alu instid0(SALU_CYCLE_1)
	s_or_b32 exec_lo, exec_lo, s1
	global_load_b64 v[10:11], v10, s[6:7]
	s_mov_b32 s1, exec_lo
	s_waitcnt vmcnt(0)
	v_cmpx_neq_f64_e32 0, v[10:11]
	s_cbranch_execz .LBB7_92
; %bb.81:
	v_mov_b32_e32 v5, 0
	v_mov_b32_e32 v6, 0x7ff80000
	s_mov_b32 s2, exec_lo
	v_cmpx_ngt_f64_e32 0, v[10:11]
	s_cbranch_execz .LBB7_91
; %bb.82:
                                        ; implicit-def: $vgpr5_vgpr6
	s_mov_b32 s0, exec_lo
	v_cmpx_ge_f64_e32 2.0, v[10:11]
	s_xor_b32 s3, exec_lo, s0
	s_cbranch_execz .LBB7_88
; %bb.83:
	v_mul_f64 v[5:6], v[10:11], 0.5
	s_mov_b32 s0, exec_lo
                                        ; implicit-def: $vgpr12_vgpr13
	v_cmpx_ge_f64_e32 0x40200000, v[10:11]
	s_xor_b32 s0, exec_lo, s0
	s_cbranch_execz .LBB7_85
; %bb.84:
	s_delay_alu instid0(VALU_DEP_2)
	v_add_f64 v[12:13], v[5:6], -2.0
	s_mov_b32 s8, 0x977da589
	s_mov_b32 s9, 0x3c833362
	;; [unrolled: 1-line block ×4, first 2 shown]
	v_cmp_nlt_f64_e32 vcc_lo, 0x40900000, v[10:11]
	s_delay_alu instid0(VALU_DEP_2) | instskip(SKIP_3) | instid1(VALU_DEP_1)
	v_fma_f64 v[14:15], v[12:13], s[10:11], s[8:9]
	s_mov_b32 s11, 0x3c545cb7
	s_mov_b32 s8, 0x721ebbb4
	;; [unrolled: 1-line block ×3, first 2 shown]
	v_fma_f64 v[16:17], v[12:13], v[14:15], s[10:11]
	s_mov_b32 s10, 0x6a5dcb37
	s_mov_b32 s11, 0x3e5ade15
	s_delay_alu instid0(VALU_DEP_1) | instskip(SKIP_2) | instid1(VALU_DEP_1)
	v_add_f64 v[16:17], v[16:17], s[8:9]
	s_mov_b32 s8, 0x93f65eba
	s_mov_b32 s9, 0x3cdee6d8
	v_fma_f64 v[14:15], v[12:13], v[16:17], -v[14:15]
	s_delay_alu instid0(VALU_DEP_1) | instskip(SKIP_2) | instid1(VALU_DEP_1)
	v_add_f64 v[14:15], v[14:15], s[8:9]
	s_mov_b32 s8, 0xc297fbeb
	s_mov_b32 s9, 0xbd0a5022
	v_fma_f64 v[16:17], v[12:13], v[14:15], -v[16:17]
	;; [unrolled: 5-line block ×20, first 2 shown]
	s_delay_alu instid0(VALU_DEP_1) | instskip(SKIP_2) | instid1(SALU_CYCLE_1)
	v_add_f64 v[16:17], v[16:17], s[8:9]
	s_mov_b32 s8, 0x652b82fe
	s_mov_b32 s9, 0x3ff71547
	v_mul_f64 v[18:19], v[10:11], s[8:9]
	s_mov_b32 s8, 0xf3dde3dd
	s_mov_b32 s9, 0x3f859961
	s_delay_alu instid0(VALU_DEP_2) | instskip(NEXT) | instid1(VALU_DEP_2)
	v_fma_f64 v[14:15], v[12:13], v[16:17], -v[14:15]
	v_rndne_f64_e32 v[18:19], v[18:19]
	s_delay_alu instid0(VALU_DEP_2)
	v_add_f64 v[14:15], v[14:15], s[8:9]
	s_mov_b32 s8, 0xfefa39ef
	s_mov_b32 s9, 0xbfe62e42
	s_delay_alu instid0(VALU_DEP_2) | instid1(SALU_CYCLE_1)
	v_fma_f64 v[20:21], v[18:19], s[8:9], v[10:11]
	s_mov_b32 s8, 0x3b39803f
	s_mov_b32 s9, 0xbc7abc9e
	s_delay_alu instid0(VALU_DEP_2) | instskip(NEXT) | instid1(VALU_DEP_2)
	v_fma_f64 v[16:17], v[12:13], v[14:15], -v[16:17]
	v_fma_f64 v[20:21], v[18:19], s[8:9], v[20:21]
	s_mov_b32 s8, 0xf121b6f0
	s_mov_b32 s9, 0xbf984e9e
	v_cvt_i32_f64_e32 v18, v[18:19]
	s_delay_alu instid0(VALU_DEP_3)
	v_add_f64 v[16:17], v[16:17], s[8:9]
	s_mov_b32 s8, 0xfca7ab0c
	s_mov_b32 s9, 0x3e928af3
	s_delay_alu instid0(VALU_DEP_3) | instid1(SALU_CYCLE_1)
	v_fma_f64 v[22:23], v[20:21], s[10:11], s[8:9]
	s_mov_b32 s8, 0x623fde64
	s_mov_b32 s9, 0x3ec71dee
	s_delay_alu instid0(VALU_DEP_2) | instskip(NEXT) | instid1(VALU_DEP_2)
	v_fma_f64 v[14:15], v[12:13], v[16:17], -v[14:15]
	v_fma_f64 v[22:23], v[20:21], v[22:23], s[8:9]
	s_mov_b32 s8, 0xcea8a32d
	s_mov_b32 s9, 0x3fa93e8a
	s_delay_alu instid0(VALU_DEP_2) | instid1(SALU_CYCLE_1)
	v_add_f64 v[14:15], v[14:15], s[8:9]
	s_mov_b32 s8, 0x7c89e6b0
	s_mov_b32 s9, 0x3efa0199
	s_delay_alu instid0(VALU_DEP_2) | instid1(SALU_CYCLE_1)
	v_fma_f64 v[22:23], v[20:21], v[22:23], s[8:9]
	s_mov_b32 s8, 0x14761f6e
	s_mov_b32 s9, 0x3f2a01a0
	s_delay_alu instid0(VALU_DEP_2) | instskip(NEXT) | instid1(VALU_DEP_2)
	v_fma_f64 v[16:17], v[12:13], v[14:15], -v[16:17]
	v_fma_f64 v[22:23], v[20:21], v[22:23], s[8:9]
	s_mov_b32 s8, 0x342d06ea
	s_mov_b32 s9, 0xbfb84b70
	s_delay_alu instid0(VALU_DEP_2) | instid1(SALU_CYCLE_1)
	v_add_f64 v[16:17], v[16:17], s[8:9]
	s_mov_b32 s8, 0x1852b7b0
	s_mov_b32 s9, 0x3f56c16c
	s_delay_alu instid0(VALU_DEP_2) | instid1(SALU_CYCLE_1)
	;; [unrolled: 13-line block ×4, first 2 shown]
	v_fma_f64 v[22:23], v[20:21], v[22:23], s[8:9]
	s_mov_b32 s8, 0x9035a22a
	s_mov_b32 s9, 0x3fe5a84e
	s_delay_alu instid0(VALU_DEP_2) | instskip(NEXT) | instid1(VALU_DEP_2)
	v_fma_f64 v[12:13], v[12:13], v[16:17], -v[14:15]
	v_fma_f64 v[16:17], v[20:21], v[22:23], 1.0
	s_delay_alu instid0(VALU_DEP_2) | instskip(NEXT) | instid1(VALU_DEP_2)
	v_add_f64 v[12:13], v[12:13], s[8:9]
	v_fma_f64 v[16:17], v[20:21], v[16:17], 1.0
	s_delay_alu instid0(VALU_DEP_2) | instskip(NEXT) | instid1(VALU_DEP_2)
	v_add_f64 v[12:13], v[12:13], -v[14:15]
	v_ldexp_f64 v[14:15], v[16:17], v18
	s_delay_alu instid0(VALU_DEP_2) | instskip(NEXT) | instid1(VALU_DEP_2)
	v_mul_f64 v[12:13], v[12:13], 0.5
	v_cndmask_b32_e32 v15, 0x7ff00000, v15, vcc_lo
	s_delay_alu instid0(VALU_DEP_3) | instskip(NEXT) | instid1(VALU_DEP_1)
	v_cndmask_b32_e32 v14, 0, v14, vcc_lo
	v_mul_f64 v[12:13], v[14:15], v[12:13]
.LBB7_85:
	s_and_not1_saveexec_b32 s8, s0
	s_cbranch_execz .LBB7_87
; %bb.86:
	v_div_scale_f64 v[12:13], null, v[10:11], v[10:11], 0x40400000
	v_div_scale_f64 v[18:19], vcc_lo, 0x40400000, v[10:11], 0x40400000
	s_mov_b32 s10, 0x66119130
	s_mov_b32 s11, 0xbc5646da
	;; [unrolled: 1-line block ×4, first 2 shown]
	v_cmp_nlt_f64_e64 s0, 0x40900000, v[10:11]
	s_delay_alu instid0(VALU_DEP_3) | instskip(SKIP_2) | instid1(VALU_DEP_1)
	v_rcp_f64_e32 v[14:15], v[12:13]
	s_waitcnt_depctr 0xfff
	v_fma_f64 v[16:17], -v[12:13], v[14:15], 1.0
	v_fma_f64 v[14:15], v[14:15], v[16:17], v[14:15]
	s_delay_alu instid0(VALU_DEP_1) | instskip(NEXT) | instid1(VALU_DEP_1)
	v_fma_f64 v[16:17], -v[12:13], v[14:15], 1.0
	v_fma_f64 v[14:15], v[14:15], v[16:17], v[14:15]
	s_delay_alu instid0(VALU_DEP_1) | instskip(NEXT) | instid1(VALU_DEP_1)
	v_mul_f64 v[16:17], v[18:19], v[14:15]
	v_fma_f64 v[12:13], -v[12:13], v[16:17], v[18:19]
	s_delay_alu instid0(VALU_DEP_1) | instskip(SKIP_1) | instid1(VALU_DEP_2)
	v_div_fmas_f64 v[12:13], v[12:13], v[14:15], v[16:17]
	v_cmp_gt_f64_e32 vcc_lo, 0x10000000, v[10:11]
	v_div_fixup_f64 v[12:13], v[12:13], v[10:11], 0x40400000
	v_cndmask_b32_e64 v24, 0, 1, vcc_lo
	s_delay_alu instid0(VALU_DEP_1) | instskip(NEXT) | instid1(VALU_DEP_1)
	v_lshlrev_b32_e32 v24, 8, v24
	v_ldexp_f64 v[24:25], v[10:11], v24
	s_delay_alu instid0(VALU_DEP_4) | instskip(NEXT) | instid1(VALU_DEP_2)
	v_add_f64 v[12:13], v[12:13], -2.0
	v_rsq_f64_e32 v[26:27], v[24:25]
	s_delay_alu instid0(VALU_DEP_1)
	v_fma_f64 v[14:15], v[12:13], s[12:13], s[10:11]
	s_mov_b32 s13, 0x3c60adb7
	s_mov_b32 s10, 0x12d98421
	;; [unrolled: 1-line block ×3, first 2 shown]
	s_waitcnt_depctr 0xfff
	v_mul_f64 v[28:29], v[24:25], v[26:27]
	v_mul_f64 v[26:27], v[26:27], 0.5
	v_fma_f64 v[16:17], v[12:13], v[14:15], s[12:13]
	s_mov_b32 s12, 0x6a5dcb37
	s_mov_b32 s13, 0x3e5ade15
	s_delay_alu instid0(VALU_DEP_2) | instskip(NEXT) | instid1(VALU_DEP_2)
	v_fma_f64 v[30:31], -v[26:27], v[28:29], 0.5
	v_add_f64 v[16:17], v[16:17], s[10:11]
	s_mov_b32 s10, 0x76041cd
	s_mov_b32 s11, 0x3c83f3dd
	s_delay_alu instid0(VALU_DEP_2) | instskip(SKIP_1) | instid1(VALU_DEP_3)
	v_fma_f64 v[28:29], v[28:29], v[30:31], v[28:29]
	v_fma_f64 v[26:27], v[26:27], v[30:31], v[26:27]
	v_fma_f64 v[14:15], v[12:13], v[16:17], -v[14:15]
	s_delay_alu instid0(VALU_DEP_3) | instskip(NEXT) | instid1(VALU_DEP_2)
	v_fma_f64 v[30:31], -v[28:29], v[28:29], v[24:25]
	v_add_f64 v[14:15], v[14:15], s[10:11]
	s_mov_b32 s10, 0xabd21fe4
	s_mov_b32 s11, 0xbcb4600b
	s_delay_alu instid0(VALU_DEP_1) | instskip(NEXT) | instid1(VALU_DEP_1)
	v_fma_f64 v[16:17], v[12:13], v[14:15], -v[16:17]
	v_add_f64 v[16:17], v[16:17], s[10:11]
	s_mov_b32 s10, 0xd908de38
	s_mov_b32 s11, 0xbcb8aee7
	s_delay_alu instid0(VALU_DEP_1) | instskip(NEXT) | instid1(VALU_DEP_1)
	v_fma_f64 v[14:15], v[12:13], v[16:17], -v[14:15]
	v_add_f64 v[14:15], v[14:15], s[10:11]
	s_mov_b32 s10, 0xa3eafb1f
	s_mov_b32 s11, 0x3cdfee7d
	s_delay_alu instid0(VALU_DEP_1) | instskip(NEXT) | instid1(VALU_DEP_1)
	v_fma_f64 v[16:17], v[12:13], v[14:15], -v[16:17]
	v_add_f64 v[16:17], v[16:17], s[10:11]
	s_mov_b32 s10, 0x9094e6d7
	s_mov_b32 s11, 0x3cf12a91
	s_delay_alu instid0(VALU_DEP_1) | instskip(NEXT) | instid1(VALU_DEP_1)
	v_fma_f64 v[14:15], v[12:13], v[16:17], -v[14:15]
	v_add_f64 v[14:15], v[14:15], s[10:11]
	s_mov_b32 s10, 0x7e65629a
	s_mov_b32 s11, 0xbd0583fe
	s_delay_alu instid0(VALU_DEP_1) | instskip(NEXT) | instid1(VALU_DEP_1)
	v_fma_f64 v[16:17], v[12:13], v[14:15], -v[16:17]
	v_add_f64 v[16:17], v[16:17], s[10:11]
	s_mov_b32 s10, 0xcf68bb32
	s_mov_b32 s11, 0xbd275d99
	s_delay_alu instid0(VALU_DEP_1) | instskip(NEXT) | instid1(VALU_DEP_1)
	v_fma_f64 v[14:15], v[12:13], v[16:17], -v[14:15]
	v_add_f64 v[14:15], v[14:15], s[10:11]
	s_mov_b32 s10, 0xd5fc545
	s_mov_b32 s11, 0x3d1156ff
	s_delay_alu instid0(VALU_DEP_1) | instskip(NEXT) | instid1(VALU_DEP_1)
	v_fma_f64 v[16:17], v[12:13], v[14:15], -v[16:17]
	v_add_f64 v[16:17], v[16:17], s[10:11]
	s_mov_b32 s10, 0x6b83c073
	s_mov_b32 s11, 0x3d5b1c8c
	s_delay_alu instid0(VALU_DEP_1) | instskip(NEXT) | instid1(VALU_DEP_1)
	v_fma_f64 v[14:15], v[12:13], v[16:17], -v[14:15]
	v_add_f64 v[14:15], v[14:15], s[10:11]
	s_mov_b32 s10, 0xfa268cec
	s_mov_b32 s11, 0x3d694347
	s_delay_alu instid0(VALU_DEP_1) | instskip(NEXT) | instid1(VALU_DEP_1)
	v_fma_f64 v[16:17], v[12:13], v[14:15], -v[16:17]
	v_add_f64 v[16:17], v[16:17], s[10:11]
	s_mov_b32 s10, 0x3178d66
	s_mov_b32 s11, 0xbd7f9043
	s_delay_alu instid0(VALU_DEP_1) | instskip(NEXT) | instid1(VALU_DEP_1)
	v_fma_f64 v[14:15], v[12:13], v[16:17], -v[14:15]
	v_add_f64 v[14:15], v[14:15], s[10:11]
	s_mov_b32 s10, 0x357e7bf2
	s_mov_b32 s11, 0xbdad0fd7
	s_delay_alu instid0(VALU_DEP_1) | instskip(NEXT) | instid1(VALU_DEP_1)
	v_fma_f64 v[16:17], v[12:13], v[14:15], -v[16:17]
	v_add_f64 v[16:17], v[16:17], s[10:11]
	s_mov_b32 s10, 0x8397425
	s_mov_b32 s11, 0xbdc1511d
	s_delay_alu instid0(VALU_DEP_1) | instskip(NEXT) | instid1(VALU_DEP_1)
	v_fma_f64 v[14:15], v[12:13], v[16:17], -v[14:15]
	v_add_f64 v[14:15], v[14:15], s[10:11]
	s_mov_b32 s10, 0xabe8004f
	s_mov_b32 s11, 0x3daa24fe
	s_delay_alu instid0(VALU_DEP_1) | instskip(NEXT) | instid1(VALU_DEP_1)
	v_fma_f64 v[16:17], v[12:13], v[14:15], -v[16:17]
	v_add_f64 v[16:17], v[16:17], s[10:11]
	s_mov_b32 s10, 0xc0f46f75
	s_mov_b32 s11, 0x3e00f9cc
	s_delay_alu instid0(VALU_DEP_1) | instskip(NEXT) | instid1(VALU_DEP_1)
	v_fma_f64 v[14:15], v[12:13], v[16:17], -v[14:15]
	v_add_f64 v[14:15], v[14:15], s[10:11]
	s_mov_b32 s10, 0x652b82fe
	s_mov_b32 s11, 0x3ff71547
	s_delay_alu instid0(SALU_CYCLE_1) | instskip(SKIP_2) | instid1(VALU_DEP_2)
	v_mul_f64 v[18:19], v[10:11], s[10:11]
	s_mov_b32 s10, 0xa9225b87
	s_mov_b32 s11, 0x3e2d2c64
	v_fma_f64 v[16:17], v[12:13], v[14:15], -v[16:17]
	s_delay_alu instid0(VALU_DEP_2) | instskip(NEXT) | instid1(VALU_DEP_2)
	v_rndne_f64_e32 v[18:19], v[18:19]
	v_add_f64 v[16:17], v[16:17], s[10:11]
	s_mov_b32 s10, 0xfefa39ef
	s_mov_b32 s11, 0xbfe62e42
	s_delay_alu instid0(VALU_DEP_2) | instid1(SALU_CYCLE_1)
	v_fma_f64 v[20:21], v[18:19], s[10:11], v[10:11]
	s_mov_b32 s10, 0x3b39803f
	s_mov_b32 s11, 0xbc7abc9e
	s_delay_alu instid0(VALU_DEP_2) | instskip(NEXT) | instid1(VALU_DEP_2)
	v_fma_f64 v[14:15], v[12:13], v[16:17], -v[14:15]
	v_fma_f64 v[20:21], v[18:19], s[10:11], v[20:21]
	s_mov_b32 s10, 0x80d6d56d
	s_mov_b32 s11, 0x3e585692
	s_delay_alu instid0(VALU_DEP_2) | instid1(SALU_CYCLE_1)
	v_add_f64 v[14:15], v[14:15], s[10:11]
	s_mov_b32 s10, 0xfca7ab0c
	s_mov_b32 s11, 0x3e928af3
	s_delay_alu instid0(VALU_DEP_2) | instid1(SALU_CYCLE_1)
	v_fma_f64 v[22:23], v[20:21], s[12:13], s[10:11]
	s_mov_b32 s10, 0x623fde64
	s_mov_b32 s11, 0x3ec71dee
	s_delay_alu instid0(VALU_DEP_2) | instskip(NEXT) | instid1(VALU_DEP_2)
	v_fma_f64 v[16:17], v[12:13], v[14:15], -v[16:17]
	v_fma_f64 v[22:23], v[20:21], v[22:23], s[10:11]
	s_mov_b32 s10, 0xd9cd616e
	s_mov_b32 s11, 0x3e8b8007
	s_delay_alu instid0(VALU_DEP_2) | instid1(SALU_CYCLE_1)
	;; [unrolled: 13-line block ×5, first 2 shown]
	v_add_f64 v[14:15], v[14:15], s[10:11]
	s_mov_b32 s10, 11
	s_mov_b32 s11, 0x3fe00000
	s_delay_alu instid0(VALU_DEP_2) | instid1(SALU_CYCLE_1)
	v_fma_f64 v[22:23], v[20:21], v[22:23], s[10:11]
	s_mov_b32 s10, 0xaca809cb
	s_mov_b32 s11, 0x3fe9be62
	s_delay_alu instid0(VALU_DEP_2) | instskip(SKIP_2) | instid1(VALU_DEP_4)
	v_fma_f64 v[12:13], v[12:13], v[14:15], -v[16:17]
	v_fma_f64 v[14:15], v[30:31], v[26:27], v[28:29]
	v_cvt_i32_f64_e32 v28, v[18:19]
	v_fma_f64 v[22:23], v[20:21], v[22:23], 1.0
	s_delay_alu instid0(VALU_DEP_4) | instskip(NEXT) | instid1(VALU_DEP_4)
	v_add_f64 v[12:13], v[12:13], s[10:11]
	v_fma_f64 v[18:19], -v[14:15], v[14:15], v[24:25]
	s_delay_alu instid0(VALU_DEP_3) | instskip(NEXT) | instid1(VALU_DEP_3)
	v_fma_f64 v[20:21], v[20:21], v[22:23], 1.0
	v_add_f64 v[12:13], v[12:13], -v[16:17]
	s_delay_alu instid0(VALU_DEP_3) | instskip(SKIP_4) | instid1(VALU_DEP_4)
	v_fma_f64 v[14:15], v[18:19], v[26:27], v[14:15]
	v_cndmask_b32_e64 v18, 0, 0xffffff80, vcc_lo
	v_cmp_class_f64_e64 vcc_lo, v[24:25], 0x260
	v_ldexp_f64 v[16:17], v[20:21], v28
	v_mul_f64 v[12:13], v[12:13], 0.5
	v_ldexp_f64 v[14:15], v[14:15], v18
	s_delay_alu instid0(VALU_DEP_3) | instskip(NEXT) | instid1(VALU_DEP_4)
	v_cndmask_b32_e64 v17, 0x7ff00000, v17, s0
	v_cndmask_b32_e64 v16, 0, v16, s0
	s_delay_alu instid0(VALU_DEP_1) | instskip(NEXT) | instid1(VALU_DEP_4)
	v_mul_f64 v[12:13], v[16:17], v[12:13]
	v_dual_cndmask_b32 v15, v15, v25 :: v_dual_cndmask_b32 v14, v14, v24
	s_delay_alu instid0(VALU_DEP_1) | instskip(NEXT) | instid1(VALU_DEP_1)
	v_div_scale_f64 v[16:17], null, v[14:15], v[14:15], v[12:13]
	v_rcp_f64_e32 v[18:19], v[16:17]
	s_waitcnt_depctr 0xfff
	v_fma_f64 v[20:21], -v[16:17], v[18:19], 1.0
	s_delay_alu instid0(VALU_DEP_1) | instskip(NEXT) | instid1(VALU_DEP_1)
	v_fma_f64 v[18:19], v[18:19], v[20:21], v[18:19]
	v_fma_f64 v[20:21], -v[16:17], v[18:19], 1.0
	s_delay_alu instid0(VALU_DEP_1) | instskip(SKIP_1) | instid1(VALU_DEP_1)
	v_fma_f64 v[18:19], v[18:19], v[20:21], v[18:19]
	v_div_scale_f64 v[20:21], vcc_lo, v[12:13], v[14:15], v[12:13]
	v_mul_f64 v[22:23], v[20:21], v[18:19]
	s_delay_alu instid0(VALU_DEP_1) | instskip(NEXT) | instid1(VALU_DEP_1)
	v_fma_f64 v[16:17], -v[16:17], v[22:23], v[20:21]
	v_div_fmas_f64 v[16:17], v[16:17], v[18:19], v[22:23]
	s_delay_alu instid0(VALU_DEP_1)
	v_div_fixup_f64 v[12:13], v[16:17], v[14:15], v[12:13]
.LBB7_87:
	s_or_b32 exec_lo, exec_lo, s8
	s_delay_alu instid0(VALU_DEP_2)
	v_frexp_mant_f64_e32 v[14:15], v[5:6]
	s_mov_b32 s9, 0x3fe55555
	s_mov_b32 s8, 0x55555555
	v_mov_b32_e32 v16, 0
	s_mov_b32 s10, 0x6b47b09a
	s_mov_b32 s12, 0xbf559e2b
	;; [unrolled: 1-line block ×4, first 2 shown]
	v_fma_f64 v[10:11], v[10:11], v[10:11], -2.0
	s_delay_alu instid0(VALU_DEP_3) | instskip(SKIP_2) | instid1(VALU_DEP_1)
	v_cmp_gt_f64_e32 vcc_lo, s[8:9], v[14:15]
	s_mov_b32 s8, 0x55555780
	v_cndmask_b32_e64 v17, 0x3ff00000, 2.0, vcc_lo
	v_mul_f64 v[14:15], v[14:15], v[16:17]
	s_delay_alu instid0(VALU_DEP_1) | instskip(SKIP_1) | instid1(VALU_DEP_2)
	v_add_f64 v[16:17], v[14:15], 1.0
	v_add_f64 v[22:23], v[14:15], -1.0
	v_rcp_f64_e32 v[18:19], v[16:17]
	v_add_f64 v[24:25], v[16:17], -1.0
	s_delay_alu instid0(VALU_DEP_1) | instskip(SKIP_2) | instid1(VALU_DEP_1)
	v_add_f64 v[14:15], v[14:15], -v[24:25]
	s_waitcnt_depctr 0xfff
	v_fma_f64 v[20:21], -v[16:17], v[18:19], 1.0
	v_fma_f64 v[18:19], v[20:21], v[18:19], v[18:19]
	s_delay_alu instid0(VALU_DEP_1) | instskip(NEXT) | instid1(VALU_DEP_1)
	v_fma_f64 v[20:21], -v[16:17], v[18:19], 1.0
	v_fma_f64 v[18:19], v[20:21], v[18:19], v[18:19]
	s_delay_alu instid0(VALU_DEP_1) | instskip(NEXT) | instid1(VALU_DEP_1)
	v_mul_f64 v[20:21], v[22:23], v[18:19]
	v_mul_f64 v[26:27], v[16:17], v[20:21]
	s_delay_alu instid0(VALU_DEP_1) | instskip(NEXT) | instid1(VALU_DEP_1)
	v_fma_f64 v[16:17], v[20:21], v[16:17], -v[26:27]
	v_fma_f64 v[14:15], v[20:21], v[14:15], v[16:17]
	s_delay_alu instid0(VALU_DEP_1) | instskip(NEXT) | instid1(VALU_DEP_1)
	v_add_f64 v[16:17], v[26:27], v[14:15]
	v_add_f64 v[24:25], v[22:23], -v[16:17]
	v_add_f64 v[26:27], v[16:17], -v[26:27]
	s_delay_alu instid0(VALU_DEP_2) | instskip(NEXT) | instid1(VALU_DEP_2)
	v_add_f64 v[22:23], v[22:23], -v[24:25]
	v_add_f64 v[14:15], v[26:27], -v[14:15]
	v_frexp_exp_i32_f64_e32 v26, v[5:6]
	s_delay_alu instid0(VALU_DEP_3) | instskip(NEXT) | instid1(VALU_DEP_1)
	v_add_f64 v[16:17], v[22:23], -v[16:17]
	v_add_f64 v[14:15], v[14:15], v[16:17]
	s_delay_alu instid0(VALU_DEP_1) | instskip(NEXT) | instid1(VALU_DEP_1)
	v_add_f64 v[14:15], v[24:25], v[14:15]
	v_mul_f64 v[14:15], v[18:19], v[14:15]
	s_delay_alu instid0(VALU_DEP_1) | instskip(NEXT) | instid1(VALU_DEP_1)
	v_add_f64 v[16:17], v[20:21], v[14:15]
	v_mul_f64 v[18:19], v[16:17], v[16:17]
	s_delay_alu instid0(VALU_DEP_1) | instskip(SKIP_3) | instid1(VALU_DEP_2)
	v_fma_f64 v[22:23], v[18:19], s[12:13], s[10:11]
	s_mov_b32 s10, 0xd7f4df2e
	s_mov_b32 s11, 0x3fc7474d
	v_mul_f64 v[24:25], v[16:17], v[18:19]
	v_fma_f64 v[22:23], v[18:19], v[22:23], s[10:11]
	s_mov_b32 s10, 0x16291751
	s_mov_b32 s11, 0x3fcc71c0
	s_delay_alu instid0(VALU_DEP_1) | instid1(SALU_CYCLE_1)
	v_fma_f64 v[22:23], v[18:19], v[22:23], s[10:11]
	s_mov_b32 s10, 0x9b27acf1
	s_mov_b32 s11, 0x3fd24924
	s_delay_alu instid0(VALU_DEP_1) | instid1(SALU_CYCLE_1)
	;; [unrolled: 4-line block ×3, first 2 shown]
	v_fma_f64 v[22:23], v[18:19], v[22:23], s[10:11]
	s_mov_b32 s11, 0x3ca3cee1
	s_mov_b32 s10, 0xe6a7fd77
	s_delay_alu instid0(VALU_DEP_1) | instskip(SKIP_4) | instid1(VALU_DEP_3)
	v_fma_f64 v[18:19], v[18:19], v[22:23], s[8:9]
	v_ldexp_f64 v[22:23], v[16:17], 1
	v_add_f64 v[16:17], v[16:17], -v[20:21]
	s_mov_b32 s8, 0xc384c2aa
	s_mov_b32 s9, 0x3d27fb0a
	v_mul_f64 v[18:19], v[24:25], v[18:19]
	v_subrev_co_ci_u32_e32 v24, vcc_lo, 0, v26, vcc_lo
	v_fma_f64 v[26:27], v[10:11], s[10:11], s[8:9]
	s_mov_b32 s8, 0xfefa39ef
	s_mov_b32 s9, 0x3fe62e42
	s_delay_alu instid0(VALU_DEP_2) | instskip(SKIP_4) | instid1(VALU_DEP_4)
	v_cvt_f64_i32_e32 v[24:25], v24
	v_add_f64 v[14:15], v[14:15], -v[16:17]
	s_mov_b32 s11, 0xbca3cee1
	v_cmp_eq_f64_e32 vcc_lo, 0x7ff00000, v[5:6]
	v_add_f64 v[20:21], v[22:23], v[18:19]
	v_mul_f64 v[28:29], v[24:25], s[8:9]
	s_delay_alu instid0(VALU_DEP_4) | instskip(NEXT) | instid1(VALU_DEP_3)
	v_ldexp_f64 v[14:15], v[14:15], 1
	v_add_f64 v[16:17], v[20:21], -v[22:23]
	v_fma_f64 v[22:23], v[10:11], v[26:27], s[10:11]
	s_delay_alu instid0(VALU_DEP_4) | instskip(SKIP_2) | instid1(VALU_DEP_3)
	v_fma_f64 v[30:31], v[24:25], s[8:9], -v[28:29]
	s_mov_b32 s8, 0x47512144
	s_mov_b32 s9, 0x3da6c25c
	v_add_f64 v[16:17], v[18:19], -v[16:17]
	s_delay_alu instid0(VALU_DEP_3)
	v_add_f64 v[18:19], v[22:23], s[8:9]
	s_mov_b32 s8, 0x3b39803f
	s_mov_b32 s9, 0x3c7abc9e
	s_delay_alu instid0(VALU_DEP_3) | instid1(SALU_CYCLE_1)
	v_fma_f64 v[22:23], v[24:25], s[8:9], v[30:31]
	s_mov_b32 s8, 0x67e58a13
	s_mov_b32 s9, 0x3e205c13
	s_delay_alu instid0(VALU_DEP_3) | instskip(NEXT) | instid1(VALU_DEP_3)
	v_add_f64 v[14:15], v[14:15], v[16:17]
	v_fma_f64 v[16:17], v[10:11], v[18:19], -v[26:27]
	s_delay_alu instid0(VALU_DEP_3) | instskip(NEXT) | instid1(VALU_DEP_3)
	v_add_f64 v[24:25], v[28:29], v[22:23]
	v_add_f64 v[26:27], v[20:21], v[14:15]
	s_delay_alu instid0(VALU_DEP_3) | instskip(SKIP_2) | instid1(VALU_DEP_3)
	v_add_f64 v[16:17], v[16:17], s[8:9]
	s_mov_b32 s8, 0xe7f95efc
	s_mov_b32 s9, 0x3e9102bc
	v_add_f64 v[28:29], v[24:25], -v[28:29]
	s_delay_alu instid0(VALU_DEP_3) | instskip(NEXT) | instid1(VALU_DEP_3)
	v_add_f64 v[30:31], v[24:25], v[26:27]
	v_fma_f64 v[18:19], v[10:11], v[16:17], -v[18:19]
	v_add_f64 v[20:21], v[26:27], -v[20:21]
	s_delay_alu instid0(VALU_DEP_4) | instskip(NEXT) | instid1(VALU_DEP_4)
	v_add_f64 v[22:23], v[22:23], -v[28:29]
	v_add_f64 v[32:33], v[30:31], -v[24:25]
	s_delay_alu instid0(VALU_DEP_4) | instskip(NEXT) | instid1(VALU_DEP_4)
	v_add_f64 v[18:19], v[18:19], s[8:9]
	v_add_f64 v[14:15], v[14:15], -v[20:21]
	s_mov_b32 s8, 0xfe8cfca0
	s_mov_b32 s9, 0x3ef7f900
	s_delay_alu instid0(VALU_DEP_3) | instskip(NEXT) | instid1(VALU_DEP_3)
	v_add_f64 v[34:35], v[30:31], -v[32:33]
	v_fma_f64 v[16:17], v[10:11], v[18:19], -v[16:17]
	v_add_f64 v[20:21], v[26:27], -v[32:33]
	s_delay_alu instid0(VALU_DEP_4) | instskip(NEXT) | instid1(VALU_DEP_4)
	v_add_f64 v[26:27], v[22:23], v[14:15]
	v_add_f64 v[24:25], v[24:25], -v[34:35]
	s_delay_alu instid0(VALU_DEP_4) | instskip(SKIP_2) | instid1(VALU_DEP_2)
	v_add_f64 v[16:17], v[16:17], s[8:9]
	s_mov_b32 s8, 0x75633d73
	s_mov_b32 s9, 0x3f54b82e
	v_add_f64 v[20:21], v[20:21], v[24:25]
	s_delay_alu instid0(VALU_DEP_2) | instskip(SKIP_1) | instid1(VALU_DEP_3)
	v_fma_f64 v[18:19], v[10:11], v[16:17], -v[18:19]
	v_add_f64 v[24:25], v[26:27], -v[22:23]
	v_add_f64 v[20:21], v[26:27], v[20:21]
	s_delay_alu instid0(VALU_DEP_3) | instskip(NEXT) | instid1(VALU_DEP_3)
	v_add_f64 v[18:19], v[18:19], s[8:9]
	v_add_f64 v[26:27], v[26:27], -v[24:25]
	v_add_f64 v[14:15], v[14:15], -v[24:25]
	s_mov_b32 s8, 0x554a9085
	s_mov_b32 s9, 0x3fa26bf6
	s_delay_alu instid0(VALU_DEP_4) | instskip(NEXT) | instid1(VALU_DEP_4)
	v_add_f64 v[28:29], v[30:31], v[20:21]
	v_fma_f64 v[16:17], v[10:11], v[18:19], -v[16:17]
	s_delay_alu instid0(VALU_DEP_4) | instskip(NEXT) | instid1(VALU_DEP_3)
	v_add_f64 v[22:23], v[22:23], -v[26:27]
	v_add_f64 v[24:25], v[28:29], -v[30:31]
	s_delay_alu instid0(VALU_DEP_3) | instskip(NEXT) | instid1(VALU_DEP_3)
	v_add_f64 v[16:17], v[16:17], s[8:9]
	v_add_f64 v[14:15], v[14:15], v[22:23]
	s_mov_b32 s8, 0x81213db9
	s_mov_b32 s9, 0x3fd608d8
	s_delay_alu instid0(VALU_DEP_3) | instskip(NEXT) | instid1(VALU_DEP_3)
	v_add_f64 v[20:21], v[20:21], -v[24:25]
	v_fma_f64 v[18:19], v[10:11], v[16:17], -v[18:19]
	s_delay_alu instid0(VALU_DEP_2) | instskip(NEXT) | instid1(VALU_DEP_2)
	v_add_f64 v[14:15], v[14:15], v[20:21]
	v_add_f64 v[18:19], v[18:19], s[8:9]
	s_mov_b32 s8, 0xe9d2f61f
	s_mov_b32 s9, 0xbfe12166
	s_delay_alu instid0(VALU_DEP_2) | instskip(NEXT) | instid1(VALU_DEP_2)
	v_add_f64 v[14:15], v[28:29], v[14:15]
	v_fma_f64 v[10:11], v[10:11], v[18:19], -v[16:17]
	s_delay_alu instid0(VALU_DEP_2) | instskip(SKIP_1) | instid1(VALU_DEP_3)
	v_dual_cndmask_b32 v15, v15, v6 :: v_dual_cndmask_b32 v14, v14, v5
	v_cmp_neq_f64_e32 vcc_lo, 0, v[5:6]
	v_add_f64 v[5:6], v[10:11], s[8:9]
	s_delay_alu instid0(VALU_DEP_3) | instskip(NEXT) | instid1(VALU_DEP_4)
	v_cndmask_b32_e32 v11, 0xfff00000, v15, vcc_lo
	v_cndmask_b32_e32 v10, 0, v14, vcc_lo
	s_delay_alu instid0(VALU_DEP_3) | instskip(NEXT) | instid1(VALU_DEP_2)
	v_add_f64 v[5:6], v[5:6], -v[16:17]
	v_mul_f64 v[10:11], v[10:11], v[12:13]
	s_delay_alu instid0(VALU_DEP_1)
	v_fma_f64 v[5:6], v[5:6], 0.5, -v[10:11]
                                        ; implicit-def: $vgpr10_vgpr11
.LBB7_88:
	s_and_not1_saveexec_b32 s3, s3
	s_cbranch_execz .LBB7_90
; %bb.89:
	v_div_scale_f64 v[5:6], null, v[10:11], v[10:11], 0x40200000
	v_div_scale_f64 v[16:17], vcc_lo, 0x40200000, v[10:11], 0x40200000
	s_mov_b32 s8, 0x93812603
	s_mov_b32 s9, 0xbc72fecc
	;; [unrolled: 1-line block ×4, first 2 shown]
	v_cmp_nlt_f64_e64 s0, 0x4090cc00, v[10:11]
	s_delay_alu instid0(VALU_DEP_3) | instskip(SKIP_2) | instid1(VALU_DEP_1)
	v_rcp_f64_e32 v[12:13], v[5:6]
	s_waitcnt_depctr 0xfff
	v_fma_f64 v[14:15], -v[5:6], v[12:13], 1.0
	v_fma_f64 v[12:13], v[12:13], v[14:15], v[12:13]
	s_delay_alu instid0(VALU_DEP_1) | instskip(NEXT) | instid1(VALU_DEP_1)
	v_fma_f64 v[14:15], -v[5:6], v[12:13], 1.0
	v_fma_f64 v[12:13], v[12:13], v[14:15], v[12:13]
	s_delay_alu instid0(VALU_DEP_1) | instskip(NEXT) | instid1(VALU_DEP_1)
	v_mul_f64 v[14:15], v[16:17], v[12:13]
	v_fma_f64 v[5:6], -v[5:6], v[14:15], v[16:17]
	s_delay_alu instid0(VALU_DEP_1) | instskip(SKIP_1) | instid1(VALU_DEP_2)
	v_div_fmas_f64 v[5:6], v[5:6], v[12:13], v[14:15]
	v_cmp_gt_f64_e32 vcc_lo, 0x10000000, v[10:11]
	v_div_fixup_f64 v[5:6], v[5:6], v[10:11], 0x40200000
	v_cndmask_b32_e64 v22, 0, 1, vcc_lo
	s_delay_alu instid0(VALU_DEP_1) | instskip(NEXT) | instid1(VALU_DEP_1)
	v_lshlrev_b32_e32 v22, 8, v22
	v_ldexp_f64 v[22:23], v[10:11], v22
	s_delay_alu instid0(VALU_DEP_4) | instskip(NEXT) | instid1(VALU_DEP_2)
	v_add_f64 v[5:6], v[5:6], -2.0
	v_rsq_f64_e32 v[24:25], v[22:23]
	s_delay_alu instid0(VALU_DEP_1)
	v_fma_f64 v[12:13], v[5:6], s[10:11], s[8:9]
	s_mov_b32 s11, 0xbc5871a5
	s_mov_b32 s8, 0x41a8cdf4
	;; [unrolled: 1-line block ×3, first 2 shown]
	s_waitcnt_depctr 0xfff
	v_mul_f64 v[26:27], v[22:23], v[24:25]
	v_mul_f64 v[24:25], v[24:25], 0.5
	v_fma_f64 v[14:15], v[5:6], v[12:13], s[10:11]
	s_mov_b32 s10, 0x6a5dcb37
	s_mov_b32 s11, 0x3e5ade15
	s_delay_alu instid0(VALU_DEP_2) | instskip(NEXT) | instid1(VALU_DEP_2)
	v_fma_f64 v[28:29], -v[24:25], v[26:27], 0.5
	v_add_f64 v[14:15], v[14:15], s[8:9]
	s_mov_b32 s8, 0x74d77641
	s_mov_b32 s9, 0xbca82f94
	s_delay_alu instid0(VALU_DEP_2) | instskip(SKIP_1) | instid1(VALU_DEP_3)
	v_fma_f64 v[26:27], v[26:27], v[28:29], v[26:27]
	v_fma_f64 v[24:25], v[24:25], v[28:29], v[24:25]
	v_fma_f64 v[12:13], v[5:6], v[14:15], -v[12:13]
	s_delay_alu instid0(VALU_DEP_3) | instskip(NEXT) | instid1(VALU_DEP_2)
	v_fma_f64 v[28:29], -v[26:27], v[26:27], v[22:23]
	v_add_f64 v[12:13], v[12:13], s[8:9]
	s_mov_b32 s8, 0x6b94785b
	s_mov_b32 s9, 0x3cc3dbf9
	s_delay_alu instid0(VALU_DEP_1) | instskip(NEXT) | instid1(VALU_DEP_1)
	v_fma_f64 v[14:15], v[5:6], v[12:13], -v[14:15]
	v_add_f64 v[14:15], v[14:15], s[8:9]
	s_mov_b32 s8, 0xecfadd36
	s_mov_b32 s9, 0xbce0a690
	s_delay_alu instid0(VALU_DEP_1) | instskip(NEXT) | instid1(VALU_DEP_1)
	v_fma_f64 v[12:13], v[5:6], v[14:15], -v[12:13]
	v_add_f64 v[12:13], v[12:13], s[8:9]
	s_mov_b32 s8, 0x4a7ddc98
	s_mov_b32 s9, 0x3cfc8d9c
	s_delay_alu instid0(VALU_DEP_1) | instskip(NEXT) | instid1(VALU_DEP_1)
	v_fma_f64 v[14:15], v[5:6], v[12:13], -v[14:15]
	v_add_f64 v[14:15], v[14:15], s[8:9]
	s_mov_b32 s8, 0xbb056fc2
	s_mov_b32 s9, 0xbd19145e
	s_delay_alu instid0(VALU_DEP_1) | instskip(NEXT) | instid1(VALU_DEP_1)
	v_fma_f64 v[12:13], v[5:6], v[14:15], -v[12:13]
	v_add_f64 v[12:13], v[12:13], s[8:9]
	s_mov_b32 s8, 0xcd94cfe2
	s_mov_b32 s9, 0x3d369c4e
	s_delay_alu instid0(VALU_DEP_1) | instskip(NEXT) | instid1(VALU_DEP_1)
	v_fma_f64 v[14:15], v[5:6], v[12:13], -v[14:15]
	v_add_f64 v[14:15], v[14:15], s[8:9]
	s_mov_b32 s8, 0x21a470d1
	s_mov_b32 s9, 0xbd54f877
	s_delay_alu instid0(VALU_DEP_1) | instskip(NEXT) | instid1(VALU_DEP_1)
	v_fma_f64 v[12:13], v[5:6], v[14:15], -v[12:13]
	v_add_f64 v[12:13], v[12:13], s[8:9]
	s_mov_b32 s8, 0x2fccfc25
	s_mov_b32 s9, 0x3d740fa3
	s_delay_alu instid0(VALU_DEP_1) | instskip(NEXT) | instid1(VALU_DEP_1)
	v_fma_f64 v[14:15], v[5:6], v[12:13], -v[14:15]
	v_add_f64 v[14:15], v[14:15], s[8:9]
	s_mov_b32 s8, 0x3f005143
	s_mov_b32 s9, 0xbd93dafc
	s_delay_alu instid0(VALU_DEP_1) | instskip(NEXT) | instid1(VALU_DEP_1)
	v_fma_f64 v[12:13], v[5:6], v[14:15], -v[12:13]
	v_add_f64 v[12:13], v[12:13], s[8:9]
	s_mov_b32 s8, 0x475fbcc7
	s_mov_b32 s9, 0x3db46808
	s_delay_alu instid0(VALU_DEP_1) | instskip(NEXT) | instid1(VALU_DEP_1)
	v_fma_f64 v[14:15], v[5:6], v[12:13], -v[14:15]
	v_add_f64 v[14:15], v[14:15], s[8:9]
	s_mov_b32 s8, 0xd2e7c935
	s_mov_b32 s9, 0xbdd5df95
	s_delay_alu instid0(VALU_DEP_1) | instskip(NEXT) | instid1(VALU_DEP_1)
	v_fma_f64 v[12:13], v[5:6], v[14:15], -v[12:13]
	v_add_f64 v[12:13], v[12:13], s[8:9]
	s_mov_b32 s8, 0x819ff608
	s_mov_b32 s9, 0x3df8956c
	s_delay_alu instid0(VALU_DEP_1) | instskip(NEXT) | instid1(VALU_DEP_1)
	v_fma_f64 v[14:15], v[5:6], v[12:13], -v[14:15]
	v_add_f64 v[14:15], v[14:15], s[8:9]
	s_mov_b32 s8, 0xf22bf5db
	s_mov_b32 s9, 0xbe1d29d5
	s_delay_alu instid0(VALU_DEP_1) | instskip(NEXT) | instid1(VALU_DEP_1)
	v_fma_f64 v[12:13], v[5:6], v[14:15], -v[12:13]
	v_add_f64 v[12:13], v[12:13], s[8:9]
	s_mov_b32 s8, 0x33f428e
	s_mov_b32 s9, 0x3e4269a0
	s_delay_alu instid0(VALU_DEP_1) | instskip(NEXT) | instid1(VALU_DEP_1)
	v_fma_f64 v[14:15], v[5:6], v[12:13], -v[14:15]
	v_add_f64 v[14:15], v[14:15], s[8:9]
	s_mov_b32 s8, 0x1b54f2af
	s_mov_b32 s9, 0xbe690554
	s_delay_alu instid0(VALU_DEP_1) | instskip(NEXT) | instid1(VALU_DEP_1)
	v_fma_f64 v[12:13], v[5:6], v[14:15], -v[12:13]
	v_add_f64 v[12:13], v[12:13], s[8:9]
	s_mov_b32 s8, 0x652b82fe
	s_mov_b32 s9, 0xbff71547
	s_delay_alu instid0(SALU_CYCLE_1) | instskip(SKIP_2) | instid1(VALU_DEP_2)
	v_mul_f64 v[16:17], v[10:11], s[8:9]
	s_mov_b32 s8, 0x81e3e46f
	s_mov_b32 s9, 0x3e929159
	v_fma_f64 v[14:15], v[5:6], v[12:13], -v[14:15]
	s_delay_alu instid0(VALU_DEP_2) | instskip(NEXT) | instid1(VALU_DEP_2)
	v_rndne_f64_e32 v[16:17], v[16:17]
	v_add_f64 v[14:15], v[14:15], s[8:9]
	s_mov_b32 s8, 0xfefa39ef
	s_mov_b32 s9, 0xbfe62e42
	s_delay_alu instid0(VALU_DEP_2) | instid1(SALU_CYCLE_1)
	v_fma_f64 v[18:19], v[16:17], s[8:9], -v[10:11]
	s_mov_b32 s8, 0x3b39803f
	s_mov_b32 s9, 0xbc7abc9e
	v_cndmask_b32_e64 v10, 0, 0xffffff80, vcc_lo
	v_cmp_class_f64_e64 vcc_lo, v[22:23], 0x260
	s_delay_alu instid0(VALU_DEP_4) | instskip(NEXT) | instid1(VALU_DEP_4)
	v_fma_f64 v[12:13], v[5:6], v[14:15], -v[12:13]
	v_fma_f64 v[18:19], v[16:17], s[8:9], v[18:19]
	s_mov_b32 s8, 0x7f18d3a9
	s_mov_b32 s9, 0xbebebb54
	s_delay_alu instid0(VALU_DEP_2) | instid1(SALU_CYCLE_1)
	v_add_f64 v[12:13], v[12:13], s[8:9]
	s_mov_b32 s8, 0xfca7ab0c
	s_mov_b32 s9, 0x3e928af3
	s_delay_alu instid0(VALU_DEP_2) | instid1(SALU_CYCLE_1)
	v_fma_f64 v[20:21], v[18:19], s[10:11], s[8:9]
	s_mov_b32 s8, 0x623fde64
	s_mov_b32 s9, 0x3ec71dee
	s_delay_alu instid0(VALU_DEP_2) | instskip(NEXT) | instid1(VALU_DEP_2)
	v_fma_f64 v[14:15], v[5:6], v[12:13], -v[14:15]
	v_fma_f64 v[20:21], v[18:19], v[20:21], s[8:9]
	s_mov_b32 s8, 0xcc7470a9
	s_mov_b32 s9, 0x3eed413f
	s_delay_alu instid0(VALU_DEP_2) | instid1(SALU_CYCLE_1)
	v_add_f64 v[14:15], v[14:15], s[8:9]
	s_mov_b32 s8, 0x7c89e6b0
	s_mov_b32 s9, 0x3efa0199
	s_delay_alu instid0(VALU_DEP_2) | instid1(SALU_CYCLE_1)
	v_fma_f64 v[20:21], v[18:19], v[20:21], s[8:9]
	s_mov_b32 s8, 0x14761f6e
	s_mov_b32 s9, 0x3f2a01a0
	s_delay_alu instid0(VALU_DEP_2) | instskip(NEXT) | instid1(VALU_DEP_2)
	;; [unrolled: 13-line block ×4, first 2 shown]
	v_fma_f64 v[12:13], v[5:6], v[14:15], -v[12:13]
	v_fma_f64 v[20:21], v[18:19], v[20:21], s[8:9]
	s_mov_b32 s8, 0x2d4ff71e
	s_mov_b32 s9, 0xbfa019f7
	s_delay_alu instid0(VALU_DEP_2) | instid1(SALU_CYCLE_1)
	v_add_f64 v[12:13], v[12:13], s[8:9]
	s_mov_b32 s8, 11
	s_mov_b32 s9, 0x3fe00000
	s_delay_alu instid0(VALU_DEP_2) | instid1(SALU_CYCLE_1)
	v_fma_f64 v[20:21], v[18:19], v[20:21], s[8:9]
	s_mov_b32 s8, 0x9f4e6907
	s_mov_b32 s9, 0x400385bd
	s_delay_alu instid0(VALU_DEP_2) | instskip(SKIP_2) | instid1(VALU_DEP_4)
	v_fma_f64 v[5:6], v[5:6], v[12:13], -v[14:15]
	v_fma_f64 v[12:13], v[28:29], v[24:25], v[26:27]
	v_cvt_i32_f64_e32 v26, v[16:17]
	v_fma_f64 v[20:21], v[18:19], v[20:21], 1.0
	s_delay_alu instid0(VALU_DEP_4) | instskip(NEXT) | instid1(VALU_DEP_4)
	v_add_f64 v[5:6], v[5:6], s[8:9]
	v_fma_f64 v[16:17], -v[12:13], v[12:13], v[22:23]
	s_delay_alu instid0(VALU_DEP_3) | instskip(NEXT) | instid1(VALU_DEP_3)
	v_fma_f64 v[18:19], v[18:19], v[20:21], 1.0
	v_add_f64 v[5:6], v[5:6], -v[14:15]
	s_delay_alu instid0(VALU_DEP_3) | instskip(NEXT) | instid1(VALU_DEP_3)
	v_fma_f64 v[12:13], v[16:17], v[24:25], v[12:13]
	v_ldexp_f64 v[14:15], v[18:19], v26
	s_delay_alu instid0(VALU_DEP_3) | instskip(NEXT) | instid1(VALU_DEP_3)
	v_mul_f64 v[5:6], v[5:6], 0.5
	v_ldexp_f64 v[10:11], v[12:13], v10
	s_delay_alu instid0(VALU_DEP_3) | instskip(NEXT) | instid1(VALU_DEP_4)
	v_cndmask_b32_e64 v13, 0, v15, s0
	v_cndmask_b32_e64 v12, 0, v14, s0
	s_delay_alu instid0(VALU_DEP_1) | instskip(NEXT) | instid1(VALU_DEP_4)
	v_mul_f64 v[5:6], v[12:13], v[5:6]
	v_dual_cndmask_b32 v11, v11, v23 :: v_dual_cndmask_b32 v10, v10, v22
	s_delay_alu instid0(VALU_DEP_1) | instskip(NEXT) | instid1(VALU_DEP_1)
	v_div_scale_f64 v[12:13], null, v[10:11], v[10:11], v[5:6]
	v_rcp_f64_e32 v[14:15], v[12:13]
	s_waitcnt_depctr 0xfff
	v_fma_f64 v[16:17], -v[12:13], v[14:15], 1.0
	s_delay_alu instid0(VALU_DEP_1) | instskip(NEXT) | instid1(VALU_DEP_1)
	v_fma_f64 v[14:15], v[14:15], v[16:17], v[14:15]
	v_fma_f64 v[16:17], -v[12:13], v[14:15], 1.0
	s_delay_alu instid0(VALU_DEP_1) | instskip(SKIP_1) | instid1(VALU_DEP_1)
	v_fma_f64 v[14:15], v[14:15], v[16:17], v[14:15]
	v_div_scale_f64 v[16:17], vcc_lo, v[5:6], v[10:11], v[5:6]
	v_mul_f64 v[18:19], v[16:17], v[14:15]
	s_delay_alu instid0(VALU_DEP_1) | instskip(NEXT) | instid1(VALU_DEP_1)
	v_fma_f64 v[12:13], -v[12:13], v[18:19], v[16:17]
	v_div_fmas_f64 v[12:13], v[12:13], v[14:15], v[18:19]
	s_delay_alu instid0(VALU_DEP_1)
	v_div_fixup_f64 v[5:6], v[12:13], v[10:11], v[5:6]
.LBB7_90:
	s_or_b32 exec_lo, exec_lo, s3
.LBB7_91:
	s_delay_alu instid0(SALU_CYCLE_1)
	s_or_b32 exec_lo, exec_lo, s2
.LBB7_92:
	s_delay_alu instid0(SALU_CYCLE_1) | instskip(SKIP_4) | instid1(VALU_DEP_1)
	s_or_b32 exec_lo, exec_lo, s1
	global_load_b64 v[13:14], v9, s[6:7]
	v_mov_b32_e32 v9, 0
	v_mov_b32_e32 v10, 0x7ff00000
	s_mov_b32 s1, exec_lo
	v_dual_mov_b32 v12, v10 :: v_dual_mov_b32 v11, v9
	s_waitcnt vmcnt(0)
	v_cmpx_neq_f64_e32 0, v[13:14]
	s_cbranch_execz .LBB7_104
; %bb.93:
	v_mov_b32_e32 v11, 0
	v_mov_b32_e32 v12, 0x7ff80000
	s_mov_b32 s2, exec_lo
	v_cmpx_ngt_f64_e32 0, v[13:14]
	s_cbranch_execz .LBB7_103
; %bb.94:
                                        ; implicit-def: $vgpr11_vgpr12
	s_mov_b32 s0, exec_lo
	v_cmpx_ge_f64_e32 2.0, v[13:14]
	s_xor_b32 s3, exec_lo, s0
	s_cbranch_execz .LBB7_100
; %bb.95:
	v_mul_f64 v[11:12], v[13:14], 0.5
	s_mov_b32 s0, exec_lo
                                        ; implicit-def: $vgpr15_vgpr16
	v_cmpx_ge_f64_e32 0x40200000, v[13:14]
	s_xor_b32 s0, exec_lo, s0
	s_cbranch_execz .LBB7_97
; %bb.96:
	s_delay_alu instid0(VALU_DEP_2)
	v_add_f64 v[15:16], v[11:12], -2.0
	s_mov_b32 s8, 0x977da589
	s_mov_b32 s9, 0x3c833362
	;; [unrolled: 1-line block ×4, first 2 shown]
	v_cmp_nlt_f64_e32 vcc_lo, 0x40900000, v[13:14]
	s_delay_alu instid0(VALU_DEP_2) | instskip(SKIP_3) | instid1(VALU_DEP_1)
	v_fma_f64 v[17:18], v[15:16], s[10:11], s[8:9]
	s_mov_b32 s11, 0x3c545cb7
	s_mov_b32 s8, 0x721ebbb4
	;; [unrolled: 1-line block ×3, first 2 shown]
	v_fma_f64 v[19:20], v[15:16], v[17:18], s[10:11]
	s_mov_b32 s10, 0x6a5dcb37
	s_mov_b32 s11, 0x3e5ade15
	s_delay_alu instid0(VALU_DEP_1) | instskip(SKIP_2) | instid1(VALU_DEP_1)
	v_add_f64 v[19:20], v[19:20], s[8:9]
	s_mov_b32 s8, 0x93f65eba
	s_mov_b32 s9, 0x3cdee6d8
	v_fma_f64 v[17:18], v[15:16], v[19:20], -v[17:18]
	s_delay_alu instid0(VALU_DEP_1) | instskip(SKIP_2) | instid1(VALU_DEP_1)
	v_add_f64 v[17:18], v[17:18], s[8:9]
	s_mov_b32 s8, 0xc297fbeb
	s_mov_b32 s9, 0xbd0a5022
	v_fma_f64 v[19:20], v[15:16], v[17:18], -v[19:20]
	;; [unrolled: 5-line block ×20, first 2 shown]
	s_delay_alu instid0(VALU_DEP_1) | instskip(SKIP_2) | instid1(SALU_CYCLE_1)
	v_add_f64 v[19:20], v[19:20], s[8:9]
	s_mov_b32 s8, 0x652b82fe
	s_mov_b32 s9, 0x3ff71547
	v_mul_f64 v[21:22], v[13:14], s[8:9]
	s_mov_b32 s8, 0xf3dde3dd
	s_mov_b32 s9, 0x3f859961
	s_delay_alu instid0(VALU_DEP_2) | instskip(NEXT) | instid1(VALU_DEP_2)
	v_fma_f64 v[17:18], v[15:16], v[19:20], -v[17:18]
	v_rndne_f64_e32 v[21:22], v[21:22]
	s_delay_alu instid0(VALU_DEP_2)
	v_add_f64 v[17:18], v[17:18], s[8:9]
	s_mov_b32 s8, 0xfefa39ef
	s_mov_b32 s9, 0xbfe62e42
	s_delay_alu instid0(VALU_DEP_2) | instid1(SALU_CYCLE_1)
	v_fma_f64 v[23:24], v[21:22], s[8:9], v[13:14]
	s_mov_b32 s8, 0x3b39803f
	s_mov_b32 s9, 0xbc7abc9e
	s_delay_alu instid0(VALU_DEP_2) | instskip(NEXT) | instid1(VALU_DEP_2)
	v_fma_f64 v[19:20], v[15:16], v[17:18], -v[19:20]
	v_fma_f64 v[23:24], v[21:22], s[8:9], v[23:24]
	s_mov_b32 s8, 0xf121b6f0
	s_mov_b32 s9, 0xbf984e9e
	v_cvt_i32_f64_e32 v21, v[21:22]
	s_delay_alu instid0(VALU_DEP_3)
	v_add_f64 v[19:20], v[19:20], s[8:9]
	s_mov_b32 s8, 0xfca7ab0c
	s_mov_b32 s9, 0x3e928af3
	s_delay_alu instid0(VALU_DEP_3) | instid1(SALU_CYCLE_1)
	v_fma_f64 v[25:26], v[23:24], s[10:11], s[8:9]
	s_mov_b32 s8, 0x623fde64
	s_mov_b32 s9, 0x3ec71dee
	s_delay_alu instid0(VALU_DEP_2) | instskip(NEXT) | instid1(VALU_DEP_2)
	v_fma_f64 v[17:18], v[15:16], v[19:20], -v[17:18]
	v_fma_f64 v[25:26], v[23:24], v[25:26], s[8:9]
	s_mov_b32 s8, 0xcea8a32d
	s_mov_b32 s9, 0x3fa93e8a
	s_delay_alu instid0(VALU_DEP_2) | instid1(SALU_CYCLE_1)
	v_add_f64 v[17:18], v[17:18], s[8:9]
	s_mov_b32 s8, 0x7c89e6b0
	s_mov_b32 s9, 0x3efa0199
	s_delay_alu instid0(VALU_DEP_2) | instid1(SALU_CYCLE_1)
	v_fma_f64 v[25:26], v[23:24], v[25:26], s[8:9]
	s_mov_b32 s8, 0x14761f6e
	s_mov_b32 s9, 0x3f2a01a0
	s_delay_alu instid0(VALU_DEP_2) | instskip(NEXT) | instid1(VALU_DEP_2)
	v_fma_f64 v[19:20], v[15:16], v[17:18], -v[19:20]
	v_fma_f64 v[25:26], v[23:24], v[25:26], s[8:9]
	s_mov_b32 s8, 0x342d06ea
	s_mov_b32 s9, 0xbfb84b70
	s_delay_alu instid0(VALU_DEP_2) | instid1(SALU_CYCLE_1)
	v_add_f64 v[19:20], v[19:20], s[8:9]
	s_mov_b32 s8, 0x1852b7b0
	s_mov_b32 s9, 0x3f56c16c
	s_delay_alu instid0(VALU_DEP_2) | instid1(SALU_CYCLE_1)
	;; [unrolled: 13-line block ×4, first 2 shown]
	v_fma_f64 v[25:26], v[23:24], v[25:26], s[8:9]
	s_mov_b32 s8, 0x9035a22a
	s_mov_b32 s9, 0x3fe5a84e
	s_delay_alu instid0(VALU_DEP_2) | instskip(NEXT) | instid1(VALU_DEP_2)
	v_fma_f64 v[15:16], v[15:16], v[19:20], -v[17:18]
	v_fma_f64 v[19:20], v[23:24], v[25:26], 1.0
	s_delay_alu instid0(VALU_DEP_2) | instskip(NEXT) | instid1(VALU_DEP_2)
	v_add_f64 v[15:16], v[15:16], s[8:9]
	v_fma_f64 v[19:20], v[23:24], v[19:20], 1.0
	s_delay_alu instid0(VALU_DEP_2) | instskip(NEXT) | instid1(VALU_DEP_2)
	v_add_f64 v[15:16], v[15:16], -v[17:18]
	v_ldexp_f64 v[17:18], v[19:20], v21
	s_delay_alu instid0(VALU_DEP_2) | instskip(NEXT) | instid1(VALU_DEP_2)
	v_mul_f64 v[15:16], v[15:16], 0.5
	v_cndmask_b32_e32 v18, 0x7ff00000, v18, vcc_lo
	s_delay_alu instid0(VALU_DEP_3) | instskip(NEXT) | instid1(VALU_DEP_1)
	v_cndmask_b32_e32 v17, 0, v17, vcc_lo
	v_mul_f64 v[15:16], v[17:18], v[15:16]
.LBB7_97:
	s_and_not1_saveexec_b32 s8, s0
	s_cbranch_execz .LBB7_99
; %bb.98:
	v_div_scale_f64 v[15:16], null, v[13:14], v[13:14], 0x40400000
	v_div_scale_f64 v[21:22], vcc_lo, 0x40400000, v[13:14], 0x40400000
	s_mov_b32 s10, 0x66119130
	s_mov_b32 s11, 0xbc5646da
	s_mov_b32 s13, 0xbc60adb7
	s_mov_b32 s12, 0x54ca8b19
	v_cmp_nlt_f64_e64 s0, 0x40900000, v[13:14]
	s_delay_alu instid0(VALU_DEP_3) | instskip(SKIP_2) | instid1(VALU_DEP_1)
	v_rcp_f64_e32 v[17:18], v[15:16]
	s_waitcnt_depctr 0xfff
	v_fma_f64 v[19:20], -v[15:16], v[17:18], 1.0
	v_fma_f64 v[17:18], v[17:18], v[19:20], v[17:18]
	s_delay_alu instid0(VALU_DEP_1) | instskip(NEXT) | instid1(VALU_DEP_1)
	v_fma_f64 v[19:20], -v[15:16], v[17:18], 1.0
	v_fma_f64 v[17:18], v[17:18], v[19:20], v[17:18]
	s_delay_alu instid0(VALU_DEP_1) | instskip(NEXT) | instid1(VALU_DEP_1)
	v_mul_f64 v[19:20], v[21:22], v[17:18]
	v_fma_f64 v[15:16], -v[15:16], v[19:20], v[21:22]
	s_delay_alu instid0(VALU_DEP_1) | instskip(SKIP_1) | instid1(VALU_DEP_2)
	v_div_fmas_f64 v[15:16], v[15:16], v[17:18], v[19:20]
	v_cmp_gt_f64_e32 vcc_lo, 0x10000000, v[13:14]
	v_div_fixup_f64 v[15:16], v[15:16], v[13:14], 0x40400000
	v_cndmask_b32_e64 v27, 0, 1, vcc_lo
	s_delay_alu instid0(VALU_DEP_1) | instskip(NEXT) | instid1(VALU_DEP_1)
	v_lshlrev_b32_e32 v27, 8, v27
	v_ldexp_f64 v[27:28], v[13:14], v27
	s_delay_alu instid0(VALU_DEP_4) | instskip(NEXT) | instid1(VALU_DEP_2)
	v_add_f64 v[15:16], v[15:16], -2.0
	v_rsq_f64_e32 v[29:30], v[27:28]
	s_delay_alu instid0(VALU_DEP_1)
	v_fma_f64 v[17:18], v[15:16], s[12:13], s[10:11]
	s_mov_b32 s13, 0x3c60adb7
	s_mov_b32 s10, 0x12d98421
	;; [unrolled: 1-line block ×3, first 2 shown]
	s_waitcnt_depctr 0xfff
	v_mul_f64 v[31:32], v[27:28], v[29:30]
	v_mul_f64 v[29:30], v[29:30], 0.5
	v_fma_f64 v[19:20], v[15:16], v[17:18], s[12:13]
	s_mov_b32 s12, 0x6a5dcb37
	s_mov_b32 s13, 0x3e5ade15
	s_delay_alu instid0(VALU_DEP_2) | instskip(NEXT) | instid1(VALU_DEP_2)
	v_fma_f64 v[33:34], -v[29:30], v[31:32], 0.5
	v_add_f64 v[19:20], v[19:20], s[10:11]
	s_mov_b32 s10, 0x76041cd
	s_mov_b32 s11, 0x3c83f3dd
	s_delay_alu instid0(VALU_DEP_2) | instskip(SKIP_1) | instid1(VALU_DEP_3)
	v_fma_f64 v[31:32], v[31:32], v[33:34], v[31:32]
	v_fma_f64 v[29:30], v[29:30], v[33:34], v[29:30]
	v_fma_f64 v[17:18], v[15:16], v[19:20], -v[17:18]
	s_delay_alu instid0(VALU_DEP_3) | instskip(NEXT) | instid1(VALU_DEP_2)
	v_fma_f64 v[33:34], -v[31:32], v[31:32], v[27:28]
	v_add_f64 v[17:18], v[17:18], s[10:11]
	s_mov_b32 s10, 0xabd21fe4
	s_mov_b32 s11, 0xbcb4600b
	s_delay_alu instid0(VALU_DEP_1) | instskip(NEXT) | instid1(VALU_DEP_1)
	v_fma_f64 v[19:20], v[15:16], v[17:18], -v[19:20]
	v_add_f64 v[19:20], v[19:20], s[10:11]
	s_mov_b32 s10, 0xd908de38
	s_mov_b32 s11, 0xbcb8aee7
	s_delay_alu instid0(VALU_DEP_1) | instskip(NEXT) | instid1(VALU_DEP_1)
	v_fma_f64 v[17:18], v[15:16], v[19:20], -v[17:18]
	;; [unrolled: 5-line block ×14, first 2 shown]
	v_add_f64 v[17:18], v[17:18], s[10:11]
	s_mov_b32 s10, 0x652b82fe
	s_mov_b32 s11, 0x3ff71547
	s_delay_alu instid0(SALU_CYCLE_1) | instskip(SKIP_2) | instid1(VALU_DEP_2)
	v_mul_f64 v[21:22], v[13:14], s[10:11]
	s_mov_b32 s10, 0xa9225b87
	s_mov_b32 s11, 0x3e2d2c64
	v_fma_f64 v[19:20], v[15:16], v[17:18], -v[19:20]
	s_delay_alu instid0(VALU_DEP_2) | instskip(NEXT) | instid1(VALU_DEP_2)
	v_rndne_f64_e32 v[21:22], v[21:22]
	v_add_f64 v[19:20], v[19:20], s[10:11]
	s_mov_b32 s10, 0xfefa39ef
	s_mov_b32 s11, 0xbfe62e42
	s_delay_alu instid0(VALU_DEP_2) | instid1(SALU_CYCLE_1)
	v_fma_f64 v[23:24], v[21:22], s[10:11], v[13:14]
	s_mov_b32 s10, 0x3b39803f
	s_mov_b32 s11, 0xbc7abc9e
	s_delay_alu instid0(VALU_DEP_2) | instskip(NEXT) | instid1(VALU_DEP_2)
	v_fma_f64 v[17:18], v[15:16], v[19:20], -v[17:18]
	v_fma_f64 v[23:24], v[21:22], s[10:11], v[23:24]
	s_mov_b32 s10, 0x80d6d56d
	s_mov_b32 s11, 0x3e585692
	s_delay_alu instid0(VALU_DEP_2) | instid1(SALU_CYCLE_1)
	v_add_f64 v[17:18], v[17:18], s[10:11]
	s_mov_b32 s10, 0xfca7ab0c
	s_mov_b32 s11, 0x3e928af3
	s_delay_alu instid0(VALU_DEP_2) | instid1(SALU_CYCLE_1)
	v_fma_f64 v[25:26], v[23:24], s[12:13], s[10:11]
	s_mov_b32 s10, 0x623fde64
	s_mov_b32 s11, 0x3ec71dee
	s_delay_alu instid0(VALU_DEP_2) | instskip(NEXT) | instid1(VALU_DEP_2)
	v_fma_f64 v[19:20], v[15:16], v[17:18], -v[19:20]
	v_fma_f64 v[25:26], v[23:24], v[25:26], s[10:11]
	s_mov_b32 s10, 0xd9cd616e
	s_mov_b32 s11, 0x3e8b8007
	s_delay_alu instid0(VALU_DEP_2) | instid1(SALU_CYCLE_1)
	;; [unrolled: 13-line block ×5, first 2 shown]
	v_add_f64 v[17:18], v[17:18], s[10:11]
	s_mov_b32 s10, 11
	s_mov_b32 s11, 0x3fe00000
	s_delay_alu instid0(VALU_DEP_2) | instid1(SALU_CYCLE_1)
	v_fma_f64 v[25:26], v[23:24], v[25:26], s[10:11]
	s_mov_b32 s10, 0xaca809cb
	s_mov_b32 s11, 0x3fe9be62
	s_delay_alu instid0(VALU_DEP_2) | instskip(SKIP_2) | instid1(VALU_DEP_4)
	v_fma_f64 v[15:16], v[15:16], v[17:18], -v[19:20]
	v_fma_f64 v[17:18], v[33:34], v[29:30], v[31:32]
	v_cvt_i32_f64_e32 v31, v[21:22]
	v_fma_f64 v[25:26], v[23:24], v[25:26], 1.0
	s_delay_alu instid0(VALU_DEP_4) | instskip(NEXT) | instid1(VALU_DEP_4)
	v_add_f64 v[15:16], v[15:16], s[10:11]
	v_fma_f64 v[21:22], -v[17:18], v[17:18], v[27:28]
	s_delay_alu instid0(VALU_DEP_3) | instskip(NEXT) | instid1(VALU_DEP_3)
	v_fma_f64 v[23:24], v[23:24], v[25:26], 1.0
	v_add_f64 v[15:16], v[15:16], -v[19:20]
	s_delay_alu instid0(VALU_DEP_3) | instskip(SKIP_4) | instid1(VALU_DEP_4)
	v_fma_f64 v[17:18], v[21:22], v[29:30], v[17:18]
	v_cndmask_b32_e64 v21, 0, 0xffffff80, vcc_lo
	v_cmp_class_f64_e64 vcc_lo, v[27:28], 0x260
	v_ldexp_f64 v[19:20], v[23:24], v31
	v_mul_f64 v[15:16], v[15:16], 0.5
	v_ldexp_f64 v[17:18], v[17:18], v21
	s_delay_alu instid0(VALU_DEP_3) | instskip(NEXT) | instid1(VALU_DEP_4)
	v_cndmask_b32_e64 v20, 0x7ff00000, v20, s0
	v_cndmask_b32_e64 v19, 0, v19, s0
	s_delay_alu instid0(VALU_DEP_1) | instskip(NEXT) | instid1(VALU_DEP_4)
	v_mul_f64 v[15:16], v[19:20], v[15:16]
	v_dual_cndmask_b32 v18, v18, v28 :: v_dual_cndmask_b32 v17, v17, v27
	s_delay_alu instid0(VALU_DEP_1) | instskip(NEXT) | instid1(VALU_DEP_1)
	v_div_scale_f64 v[19:20], null, v[17:18], v[17:18], v[15:16]
	v_rcp_f64_e32 v[21:22], v[19:20]
	s_waitcnt_depctr 0xfff
	v_fma_f64 v[23:24], -v[19:20], v[21:22], 1.0
	s_delay_alu instid0(VALU_DEP_1) | instskip(NEXT) | instid1(VALU_DEP_1)
	v_fma_f64 v[21:22], v[21:22], v[23:24], v[21:22]
	v_fma_f64 v[23:24], -v[19:20], v[21:22], 1.0
	s_delay_alu instid0(VALU_DEP_1) | instskip(SKIP_1) | instid1(VALU_DEP_1)
	v_fma_f64 v[21:22], v[21:22], v[23:24], v[21:22]
	v_div_scale_f64 v[23:24], vcc_lo, v[15:16], v[17:18], v[15:16]
	v_mul_f64 v[25:26], v[23:24], v[21:22]
	s_delay_alu instid0(VALU_DEP_1) | instskip(NEXT) | instid1(VALU_DEP_1)
	v_fma_f64 v[19:20], -v[19:20], v[25:26], v[23:24]
	v_div_fmas_f64 v[19:20], v[19:20], v[21:22], v[25:26]
	s_delay_alu instid0(VALU_DEP_1)
	v_div_fixup_f64 v[15:16], v[19:20], v[17:18], v[15:16]
.LBB7_99:
	s_or_b32 exec_lo, exec_lo, s8
	s_delay_alu instid0(VALU_DEP_2)
	v_frexp_mant_f64_e32 v[17:18], v[11:12]
	s_mov_b32 s9, 0x3fe55555
	s_mov_b32 s8, 0x55555555
	v_mov_b32_e32 v19, 0
	s_mov_b32 s10, 0x6b47b09a
	s_mov_b32 s12, 0xbf559e2b
	;; [unrolled: 1-line block ×4, first 2 shown]
	v_fma_f64 v[13:14], v[13:14], v[13:14], -2.0
	s_delay_alu instid0(VALU_DEP_3) | instskip(SKIP_2) | instid1(VALU_DEP_1)
	v_cmp_gt_f64_e32 vcc_lo, s[8:9], v[17:18]
	s_mov_b32 s8, 0x55555780
	v_cndmask_b32_e64 v20, 0x3ff00000, 2.0, vcc_lo
	v_mul_f64 v[17:18], v[17:18], v[19:20]
	s_delay_alu instid0(VALU_DEP_1) | instskip(SKIP_1) | instid1(VALU_DEP_2)
	v_add_f64 v[19:20], v[17:18], 1.0
	v_add_f64 v[25:26], v[17:18], -1.0
	v_rcp_f64_e32 v[21:22], v[19:20]
	v_add_f64 v[27:28], v[19:20], -1.0
	s_delay_alu instid0(VALU_DEP_1) | instskip(SKIP_2) | instid1(VALU_DEP_1)
	v_add_f64 v[17:18], v[17:18], -v[27:28]
	s_waitcnt_depctr 0xfff
	v_fma_f64 v[23:24], -v[19:20], v[21:22], 1.0
	v_fma_f64 v[21:22], v[23:24], v[21:22], v[21:22]
	s_delay_alu instid0(VALU_DEP_1) | instskip(NEXT) | instid1(VALU_DEP_1)
	v_fma_f64 v[23:24], -v[19:20], v[21:22], 1.0
	v_fma_f64 v[21:22], v[23:24], v[21:22], v[21:22]
	s_delay_alu instid0(VALU_DEP_1) | instskip(NEXT) | instid1(VALU_DEP_1)
	v_mul_f64 v[23:24], v[25:26], v[21:22]
	v_mul_f64 v[29:30], v[19:20], v[23:24]
	s_delay_alu instid0(VALU_DEP_1) | instskip(NEXT) | instid1(VALU_DEP_1)
	v_fma_f64 v[19:20], v[23:24], v[19:20], -v[29:30]
	v_fma_f64 v[17:18], v[23:24], v[17:18], v[19:20]
	s_delay_alu instid0(VALU_DEP_1) | instskip(NEXT) | instid1(VALU_DEP_1)
	v_add_f64 v[19:20], v[29:30], v[17:18]
	v_add_f64 v[27:28], v[25:26], -v[19:20]
	v_add_f64 v[29:30], v[19:20], -v[29:30]
	s_delay_alu instid0(VALU_DEP_2) | instskip(NEXT) | instid1(VALU_DEP_2)
	v_add_f64 v[25:26], v[25:26], -v[27:28]
	v_add_f64 v[17:18], v[29:30], -v[17:18]
	v_frexp_exp_i32_f64_e32 v29, v[11:12]
	s_delay_alu instid0(VALU_DEP_3) | instskip(NEXT) | instid1(VALU_DEP_1)
	v_add_f64 v[19:20], v[25:26], -v[19:20]
	v_add_f64 v[17:18], v[17:18], v[19:20]
	s_delay_alu instid0(VALU_DEP_1) | instskip(NEXT) | instid1(VALU_DEP_1)
	v_add_f64 v[17:18], v[27:28], v[17:18]
	v_mul_f64 v[17:18], v[21:22], v[17:18]
	s_delay_alu instid0(VALU_DEP_1) | instskip(NEXT) | instid1(VALU_DEP_1)
	v_add_f64 v[19:20], v[23:24], v[17:18]
	v_mul_f64 v[21:22], v[19:20], v[19:20]
	s_delay_alu instid0(VALU_DEP_1) | instskip(SKIP_3) | instid1(VALU_DEP_2)
	v_fma_f64 v[25:26], v[21:22], s[12:13], s[10:11]
	s_mov_b32 s10, 0xd7f4df2e
	s_mov_b32 s11, 0x3fc7474d
	v_mul_f64 v[27:28], v[19:20], v[21:22]
	v_fma_f64 v[25:26], v[21:22], v[25:26], s[10:11]
	s_mov_b32 s10, 0x16291751
	s_mov_b32 s11, 0x3fcc71c0
	s_delay_alu instid0(VALU_DEP_1) | instid1(SALU_CYCLE_1)
	v_fma_f64 v[25:26], v[21:22], v[25:26], s[10:11]
	s_mov_b32 s10, 0x9b27acf1
	s_mov_b32 s11, 0x3fd24924
	s_delay_alu instid0(VALU_DEP_1) | instid1(SALU_CYCLE_1)
	;; [unrolled: 4-line block ×3, first 2 shown]
	v_fma_f64 v[25:26], v[21:22], v[25:26], s[10:11]
	s_mov_b32 s11, 0x3ca3cee1
	s_mov_b32 s10, 0xe6a7fd77
	s_delay_alu instid0(VALU_DEP_1) | instskip(SKIP_4) | instid1(VALU_DEP_3)
	v_fma_f64 v[21:22], v[21:22], v[25:26], s[8:9]
	v_ldexp_f64 v[25:26], v[19:20], 1
	v_add_f64 v[19:20], v[19:20], -v[23:24]
	s_mov_b32 s8, 0xc384c2aa
	s_mov_b32 s9, 0x3d27fb0a
	v_mul_f64 v[21:22], v[27:28], v[21:22]
	v_subrev_co_ci_u32_e32 v27, vcc_lo, 0, v29, vcc_lo
	v_fma_f64 v[29:30], v[13:14], s[10:11], s[8:9]
	s_mov_b32 s8, 0xfefa39ef
	s_mov_b32 s9, 0x3fe62e42
	s_delay_alu instid0(VALU_DEP_2) | instskip(SKIP_4) | instid1(VALU_DEP_4)
	v_cvt_f64_i32_e32 v[27:28], v27
	v_add_f64 v[17:18], v[17:18], -v[19:20]
	s_mov_b32 s11, 0xbca3cee1
	v_cmp_eq_f64_e32 vcc_lo, 0x7ff00000, v[11:12]
	v_add_f64 v[23:24], v[25:26], v[21:22]
	v_mul_f64 v[31:32], v[27:28], s[8:9]
	s_delay_alu instid0(VALU_DEP_4) | instskip(NEXT) | instid1(VALU_DEP_3)
	v_ldexp_f64 v[17:18], v[17:18], 1
	v_add_f64 v[19:20], v[23:24], -v[25:26]
	v_fma_f64 v[25:26], v[13:14], v[29:30], s[10:11]
	s_delay_alu instid0(VALU_DEP_4) | instskip(SKIP_2) | instid1(VALU_DEP_3)
	v_fma_f64 v[33:34], v[27:28], s[8:9], -v[31:32]
	s_mov_b32 s8, 0x47512144
	s_mov_b32 s9, 0x3da6c25c
	v_add_f64 v[19:20], v[21:22], -v[19:20]
	s_delay_alu instid0(VALU_DEP_3)
	v_add_f64 v[21:22], v[25:26], s[8:9]
	s_mov_b32 s8, 0x3b39803f
	s_mov_b32 s9, 0x3c7abc9e
	s_delay_alu instid0(VALU_DEP_3) | instid1(SALU_CYCLE_1)
	v_fma_f64 v[25:26], v[27:28], s[8:9], v[33:34]
	s_mov_b32 s8, 0x67e58a13
	s_mov_b32 s9, 0x3e205c13
	s_delay_alu instid0(VALU_DEP_3) | instskip(NEXT) | instid1(VALU_DEP_3)
	v_add_f64 v[17:18], v[17:18], v[19:20]
	v_fma_f64 v[19:20], v[13:14], v[21:22], -v[29:30]
	s_delay_alu instid0(VALU_DEP_3) | instskip(NEXT) | instid1(VALU_DEP_3)
	v_add_f64 v[27:28], v[31:32], v[25:26]
	v_add_f64 v[29:30], v[23:24], v[17:18]
	s_delay_alu instid0(VALU_DEP_3) | instskip(SKIP_2) | instid1(VALU_DEP_3)
	v_add_f64 v[19:20], v[19:20], s[8:9]
	s_mov_b32 s8, 0xe7f95efc
	s_mov_b32 s9, 0x3e9102bc
	v_add_f64 v[31:32], v[27:28], -v[31:32]
	s_delay_alu instid0(VALU_DEP_3) | instskip(NEXT) | instid1(VALU_DEP_3)
	v_add_f64 v[33:34], v[27:28], v[29:30]
	v_fma_f64 v[21:22], v[13:14], v[19:20], -v[21:22]
	v_add_f64 v[23:24], v[29:30], -v[23:24]
	s_delay_alu instid0(VALU_DEP_4) | instskip(NEXT) | instid1(VALU_DEP_4)
	v_add_f64 v[25:26], v[25:26], -v[31:32]
	v_add_f64 v[35:36], v[33:34], -v[27:28]
	s_delay_alu instid0(VALU_DEP_4) | instskip(NEXT) | instid1(VALU_DEP_4)
	v_add_f64 v[21:22], v[21:22], s[8:9]
	v_add_f64 v[17:18], v[17:18], -v[23:24]
	s_mov_b32 s8, 0xfe8cfca0
	s_mov_b32 s9, 0x3ef7f900
	s_delay_alu instid0(VALU_DEP_3) | instskip(NEXT) | instid1(VALU_DEP_3)
	v_add_f64 v[37:38], v[33:34], -v[35:36]
	v_fma_f64 v[19:20], v[13:14], v[21:22], -v[19:20]
	v_add_f64 v[23:24], v[29:30], -v[35:36]
	s_delay_alu instid0(VALU_DEP_4) | instskip(NEXT) | instid1(VALU_DEP_4)
	v_add_f64 v[29:30], v[25:26], v[17:18]
	v_add_f64 v[27:28], v[27:28], -v[37:38]
	s_delay_alu instid0(VALU_DEP_4) | instskip(SKIP_2) | instid1(VALU_DEP_2)
	v_add_f64 v[19:20], v[19:20], s[8:9]
	s_mov_b32 s8, 0x75633d73
	s_mov_b32 s9, 0x3f54b82e
	v_add_f64 v[23:24], v[23:24], v[27:28]
	s_delay_alu instid0(VALU_DEP_2) | instskip(SKIP_1) | instid1(VALU_DEP_3)
	v_fma_f64 v[21:22], v[13:14], v[19:20], -v[21:22]
	v_add_f64 v[27:28], v[29:30], -v[25:26]
	v_add_f64 v[23:24], v[29:30], v[23:24]
	s_delay_alu instid0(VALU_DEP_3) | instskip(NEXT) | instid1(VALU_DEP_3)
	v_add_f64 v[21:22], v[21:22], s[8:9]
	v_add_f64 v[29:30], v[29:30], -v[27:28]
	v_add_f64 v[17:18], v[17:18], -v[27:28]
	s_mov_b32 s8, 0x554a9085
	s_mov_b32 s9, 0x3fa26bf6
	s_delay_alu instid0(VALU_DEP_4) | instskip(NEXT) | instid1(VALU_DEP_4)
	v_add_f64 v[31:32], v[33:34], v[23:24]
	v_fma_f64 v[19:20], v[13:14], v[21:22], -v[19:20]
	s_delay_alu instid0(VALU_DEP_4) | instskip(NEXT) | instid1(VALU_DEP_3)
	v_add_f64 v[25:26], v[25:26], -v[29:30]
	v_add_f64 v[27:28], v[31:32], -v[33:34]
	s_delay_alu instid0(VALU_DEP_3) | instskip(NEXT) | instid1(VALU_DEP_3)
	v_add_f64 v[19:20], v[19:20], s[8:9]
	v_add_f64 v[17:18], v[17:18], v[25:26]
	s_mov_b32 s8, 0x81213db9
	s_mov_b32 s9, 0x3fd608d8
	s_delay_alu instid0(VALU_DEP_3) | instskip(NEXT) | instid1(VALU_DEP_3)
	v_add_f64 v[23:24], v[23:24], -v[27:28]
	v_fma_f64 v[21:22], v[13:14], v[19:20], -v[21:22]
	s_delay_alu instid0(VALU_DEP_2) | instskip(NEXT) | instid1(VALU_DEP_2)
	v_add_f64 v[17:18], v[17:18], v[23:24]
	v_add_f64 v[21:22], v[21:22], s[8:9]
	s_mov_b32 s8, 0xe9d2f61f
	s_mov_b32 s9, 0xbfe12166
	s_delay_alu instid0(VALU_DEP_2) | instskip(NEXT) | instid1(VALU_DEP_2)
	v_add_f64 v[17:18], v[31:32], v[17:18]
	v_fma_f64 v[13:14], v[13:14], v[21:22], -v[19:20]
	s_delay_alu instid0(VALU_DEP_2) | instskip(SKIP_1) | instid1(VALU_DEP_3)
	v_dual_cndmask_b32 v18, v18, v12 :: v_dual_cndmask_b32 v17, v17, v11
	v_cmp_neq_f64_e32 vcc_lo, 0, v[11:12]
	v_add_f64 v[11:12], v[13:14], s[8:9]
	s_delay_alu instid0(VALU_DEP_3) | instskip(NEXT) | instid1(VALU_DEP_4)
	v_cndmask_b32_e32 v14, 0xfff00000, v18, vcc_lo
	v_cndmask_b32_e32 v13, 0, v17, vcc_lo
	s_delay_alu instid0(VALU_DEP_3) | instskip(NEXT) | instid1(VALU_DEP_2)
	v_add_f64 v[11:12], v[11:12], -v[19:20]
	v_mul_f64 v[13:14], v[13:14], v[15:16]
	s_delay_alu instid0(VALU_DEP_1)
	v_fma_f64 v[11:12], v[11:12], 0.5, -v[13:14]
                                        ; implicit-def: $vgpr13_vgpr14
.LBB7_100:
	s_and_not1_saveexec_b32 s3, s3
	s_cbranch_execz .LBB7_102
; %bb.101:
	v_div_scale_f64 v[11:12], null, v[13:14], v[13:14], 0x40200000
	v_div_scale_f64 v[19:20], vcc_lo, 0x40200000, v[13:14], 0x40200000
	s_mov_b32 s8, 0x93812603
	s_mov_b32 s9, 0xbc72fecc
	;; [unrolled: 1-line block ×4, first 2 shown]
	v_cmp_nlt_f64_e64 s0, 0x4090cc00, v[13:14]
	s_delay_alu instid0(VALU_DEP_3) | instskip(SKIP_2) | instid1(VALU_DEP_1)
	v_rcp_f64_e32 v[15:16], v[11:12]
	s_waitcnt_depctr 0xfff
	v_fma_f64 v[17:18], -v[11:12], v[15:16], 1.0
	v_fma_f64 v[15:16], v[15:16], v[17:18], v[15:16]
	s_delay_alu instid0(VALU_DEP_1) | instskip(NEXT) | instid1(VALU_DEP_1)
	v_fma_f64 v[17:18], -v[11:12], v[15:16], 1.0
	v_fma_f64 v[15:16], v[15:16], v[17:18], v[15:16]
	s_delay_alu instid0(VALU_DEP_1) | instskip(NEXT) | instid1(VALU_DEP_1)
	v_mul_f64 v[17:18], v[19:20], v[15:16]
	v_fma_f64 v[11:12], -v[11:12], v[17:18], v[19:20]
	s_delay_alu instid0(VALU_DEP_1) | instskip(SKIP_1) | instid1(VALU_DEP_2)
	v_div_fmas_f64 v[11:12], v[11:12], v[15:16], v[17:18]
	v_cmp_gt_f64_e32 vcc_lo, 0x10000000, v[13:14]
	v_div_fixup_f64 v[11:12], v[11:12], v[13:14], 0x40200000
	v_cndmask_b32_e64 v25, 0, 1, vcc_lo
	s_delay_alu instid0(VALU_DEP_1) | instskip(NEXT) | instid1(VALU_DEP_1)
	v_lshlrev_b32_e32 v25, 8, v25
	v_ldexp_f64 v[25:26], v[13:14], v25
	s_delay_alu instid0(VALU_DEP_4) | instskip(NEXT) | instid1(VALU_DEP_2)
	v_add_f64 v[11:12], v[11:12], -2.0
	v_rsq_f64_e32 v[27:28], v[25:26]
	s_delay_alu instid0(VALU_DEP_1)
	v_fma_f64 v[15:16], v[11:12], s[10:11], s[8:9]
	s_mov_b32 s11, 0xbc5871a5
	s_mov_b32 s8, 0x41a8cdf4
	;; [unrolled: 1-line block ×3, first 2 shown]
	s_waitcnt_depctr 0xfff
	v_mul_f64 v[29:30], v[25:26], v[27:28]
	v_mul_f64 v[27:28], v[27:28], 0.5
	v_fma_f64 v[17:18], v[11:12], v[15:16], s[10:11]
	s_mov_b32 s10, 0x6a5dcb37
	s_mov_b32 s11, 0x3e5ade15
	s_delay_alu instid0(VALU_DEP_2) | instskip(NEXT) | instid1(VALU_DEP_2)
	v_fma_f64 v[31:32], -v[27:28], v[29:30], 0.5
	v_add_f64 v[17:18], v[17:18], s[8:9]
	s_mov_b32 s8, 0x74d77641
	s_mov_b32 s9, 0xbca82f94
	s_delay_alu instid0(VALU_DEP_2) | instskip(SKIP_1) | instid1(VALU_DEP_3)
	v_fma_f64 v[29:30], v[29:30], v[31:32], v[29:30]
	v_fma_f64 v[27:28], v[27:28], v[31:32], v[27:28]
	v_fma_f64 v[15:16], v[11:12], v[17:18], -v[15:16]
	s_delay_alu instid0(VALU_DEP_3) | instskip(NEXT) | instid1(VALU_DEP_2)
	v_fma_f64 v[31:32], -v[29:30], v[29:30], v[25:26]
	v_add_f64 v[15:16], v[15:16], s[8:9]
	s_mov_b32 s8, 0x6b94785b
	s_mov_b32 s9, 0x3cc3dbf9
	s_delay_alu instid0(VALU_DEP_1) | instskip(NEXT) | instid1(VALU_DEP_1)
	v_fma_f64 v[17:18], v[11:12], v[15:16], -v[17:18]
	v_add_f64 v[17:18], v[17:18], s[8:9]
	s_mov_b32 s8, 0xecfadd36
	s_mov_b32 s9, 0xbce0a690
	s_delay_alu instid0(VALU_DEP_1) | instskip(NEXT) | instid1(VALU_DEP_1)
	v_fma_f64 v[15:16], v[11:12], v[17:18], -v[15:16]
	;; [unrolled: 5-line block ×14, first 2 shown]
	v_add_f64 v[15:16], v[15:16], s[8:9]
	s_mov_b32 s8, 0x652b82fe
	s_mov_b32 s9, 0xbff71547
	s_delay_alu instid0(SALU_CYCLE_1) | instskip(SKIP_2) | instid1(VALU_DEP_2)
	v_mul_f64 v[19:20], v[13:14], s[8:9]
	s_mov_b32 s8, 0x81e3e46f
	s_mov_b32 s9, 0x3e929159
	v_fma_f64 v[17:18], v[11:12], v[15:16], -v[17:18]
	s_delay_alu instid0(VALU_DEP_2) | instskip(NEXT) | instid1(VALU_DEP_2)
	v_rndne_f64_e32 v[19:20], v[19:20]
	v_add_f64 v[17:18], v[17:18], s[8:9]
	s_mov_b32 s8, 0xfefa39ef
	s_mov_b32 s9, 0xbfe62e42
	s_delay_alu instid0(VALU_DEP_2) | instid1(SALU_CYCLE_1)
	v_fma_f64 v[21:22], v[19:20], s[8:9], -v[13:14]
	s_mov_b32 s8, 0x3b39803f
	s_mov_b32 s9, 0xbc7abc9e
	v_cndmask_b32_e64 v13, 0, 0xffffff80, vcc_lo
	v_cmp_class_f64_e64 vcc_lo, v[25:26], 0x260
	s_delay_alu instid0(VALU_DEP_4) | instskip(NEXT) | instid1(VALU_DEP_4)
	v_fma_f64 v[15:16], v[11:12], v[17:18], -v[15:16]
	v_fma_f64 v[21:22], v[19:20], s[8:9], v[21:22]
	s_mov_b32 s8, 0x7f18d3a9
	s_mov_b32 s9, 0xbebebb54
	s_delay_alu instid0(VALU_DEP_2) | instid1(SALU_CYCLE_1)
	v_add_f64 v[15:16], v[15:16], s[8:9]
	s_mov_b32 s8, 0xfca7ab0c
	s_mov_b32 s9, 0x3e928af3
	s_delay_alu instid0(VALU_DEP_2) | instid1(SALU_CYCLE_1)
	v_fma_f64 v[23:24], v[21:22], s[10:11], s[8:9]
	s_mov_b32 s8, 0x623fde64
	s_mov_b32 s9, 0x3ec71dee
	s_delay_alu instid0(VALU_DEP_2) | instskip(NEXT) | instid1(VALU_DEP_2)
	v_fma_f64 v[17:18], v[11:12], v[15:16], -v[17:18]
	v_fma_f64 v[23:24], v[21:22], v[23:24], s[8:9]
	s_mov_b32 s8, 0xcc7470a9
	s_mov_b32 s9, 0x3eed413f
	s_delay_alu instid0(VALU_DEP_2) | instid1(SALU_CYCLE_1)
	v_add_f64 v[17:18], v[17:18], s[8:9]
	s_mov_b32 s8, 0x7c89e6b0
	s_mov_b32 s9, 0x3efa0199
	s_delay_alu instid0(VALU_DEP_2) | instid1(SALU_CYCLE_1)
	v_fma_f64 v[23:24], v[21:22], v[23:24], s[8:9]
	s_mov_b32 s8, 0x14761f6e
	s_mov_b32 s9, 0x3f2a01a0
	s_delay_alu instid0(VALU_DEP_2) | instskip(NEXT) | instid1(VALU_DEP_2)
	;; [unrolled: 13-line block ×4, first 2 shown]
	v_fma_f64 v[15:16], v[11:12], v[17:18], -v[15:16]
	v_fma_f64 v[23:24], v[21:22], v[23:24], s[8:9]
	s_mov_b32 s8, 0x2d4ff71e
	s_mov_b32 s9, 0xbfa019f7
	s_delay_alu instid0(VALU_DEP_2) | instid1(SALU_CYCLE_1)
	v_add_f64 v[15:16], v[15:16], s[8:9]
	s_mov_b32 s8, 11
	s_mov_b32 s9, 0x3fe00000
	s_delay_alu instid0(VALU_DEP_2) | instid1(SALU_CYCLE_1)
	v_fma_f64 v[23:24], v[21:22], v[23:24], s[8:9]
	s_mov_b32 s8, 0x9f4e6907
	s_mov_b32 s9, 0x400385bd
	s_delay_alu instid0(VALU_DEP_2) | instskip(SKIP_2) | instid1(VALU_DEP_4)
	v_fma_f64 v[11:12], v[11:12], v[15:16], -v[17:18]
	v_fma_f64 v[15:16], v[31:32], v[27:28], v[29:30]
	v_cvt_i32_f64_e32 v29, v[19:20]
	v_fma_f64 v[23:24], v[21:22], v[23:24], 1.0
	s_delay_alu instid0(VALU_DEP_4) | instskip(NEXT) | instid1(VALU_DEP_4)
	v_add_f64 v[11:12], v[11:12], s[8:9]
	v_fma_f64 v[19:20], -v[15:16], v[15:16], v[25:26]
	s_delay_alu instid0(VALU_DEP_3) | instskip(NEXT) | instid1(VALU_DEP_3)
	v_fma_f64 v[21:22], v[21:22], v[23:24], 1.0
	v_add_f64 v[11:12], v[11:12], -v[17:18]
	s_delay_alu instid0(VALU_DEP_3) | instskip(NEXT) | instid1(VALU_DEP_3)
	v_fma_f64 v[15:16], v[19:20], v[27:28], v[15:16]
	v_ldexp_f64 v[17:18], v[21:22], v29
	s_delay_alu instid0(VALU_DEP_3) | instskip(NEXT) | instid1(VALU_DEP_3)
	v_mul_f64 v[11:12], v[11:12], 0.5
	v_ldexp_f64 v[13:14], v[15:16], v13
	s_delay_alu instid0(VALU_DEP_3) | instskip(NEXT) | instid1(VALU_DEP_4)
	v_cndmask_b32_e64 v16, 0, v18, s0
	v_cndmask_b32_e64 v15, 0, v17, s0
	s_delay_alu instid0(VALU_DEP_1) | instskip(NEXT) | instid1(VALU_DEP_4)
	v_mul_f64 v[11:12], v[15:16], v[11:12]
	v_dual_cndmask_b32 v14, v14, v26 :: v_dual_cndmask_b32 v13, v13, v25
	s_delay_alu instid0(VALU_DEP_1) | instskip(NEXT) | instid1(VALU_DEP_1)
	v_div_scale_f64 v[15:16], null, v[13:14], v[13:14], v[11:12]
	v_rcp_f64_e32 v[17:18], v[15:16]
	s_waitcnt_depctr 0xfff
	v_fma_f64 v[19:20], -v[15:16], v[17:18], 1.0
	s_delay_alu instid0(VALU_DEP_1) | instskip(NEXT) | instid1(VALU_DEP_1)
	v_fma_f64 v[17:18], v[17:18], v[19:20], v[17:18]
	v_fma_f64 v[19:20], -v[15:16], v[17:18], 1.0
	s_delay_alu instid0(VALU_DEP_1) | instskip(SKIP_1) | instid1(VALU_DEP_1)
	v_fma_f64 v[17:18], v[17:18], v[19:20], v[17:18]
	v_div_scale_f64 v[19:20], vcc_lo, v[11:12], v[13:14], v[11:12]
	v_mul_f64 v[21:22], v[19:20], v[17:18]
	s_delay_alu instid0(VALU_DEP_1) | instskip(NEXT) | instid1(VALU_DEP_1)
	v_fma_f64 v[15:16], -v[15:16], v[21:22], v[19:20]
	v_div_fmas_f64 v[15:16], v[15:16], v[17:18], v[21:22]
	s_delay_alu instid0(VALU_DEP_1)
	v_div_fixup_f64 v[11:12], v[15:16], v[13:14], v[11:12]
.LBB7_102:
	s_or_b32 exec_lo, exec_lo, s3
.LBB7_103:
	s_delay_alu instid0(SALU_CYCLE_1)
	s_or_b32 exec_lo, exec_lo, s2
.LBB7_104:
	s_delay_alu instid0(SALU_CYCLE_1)
	s_or_b32 exec_lo, exec_lo, s1
	global_load_b64 v[13:14], v4, s[6:7]
	s_mov_b32 s1, exec_lo
	s_waitcnt vmcnt(0)
	v_cmpx_neq_f64_e32 0, v[13:14]
	s_cbranch_execz .LBB7_116
; %bb.105:
	v_mov_b32_e32 v9, 0
	v_mov_b32_e32 v10, 0x7ff80000
	s_mov_b32 s2, exec_lo
	v_cmpx_ngt_f64_e32 0, v[13:14]
	s_cbranch_execz .LBB7_115
; %bb.106:
                                        ; implicit-def: $vgpr9_vgpr10
	s_mov_b32 s0, exec_lo
	v_cmpx_ge_f64_e32 2.0, v[13:14]
	s_xor_b32 s3, exec_lo, s0
	s_cbranch_execz .LBB7_112
; %bb.107:
	v_mul_f64 v[9:10], v[13:14], 0.5
	s_mov_b32 s0, exec_lo
                                        ; implicit-def: $vgpr15_vgpr16
	v_cmpx_ge_f64_e32 0x40200000, v[13:14]
	s_xor_b32 s0, exec_lo, s0
	s_cbranch_execz .LBB7_109
; %bb.108:
	s_delay_alu instid0(VALU_DEP_2)
	v_add_f64 v[15:16], v[9:10], -2.0
	s_mov_b32 s6, 0x977da589
	s_mov_b32 s7, 0x3c833362
	s_mov_b32 s9, 0xbc545cb7
	s_mov_b32 s8, 0x2134d0ef
	v_cmp_nlt_f64_e32 vcc_lo, 0x40900000, v[13:14]
	s_delay_alu instid0(VALU_DEP_2) | instskip(SKIP_3) | instid1(VALU_DEP_1)
	v_fma_f64 v[17:18], v[15:16], s[8:9], s[6:7]
	s_mov_b32 s9, 0x3c545cb7
	s_mov_b32 s6, 0x721ebbb4
	;; [unrolled: 1-line block ×3, first 2 shown]
	v_fma_f64 v[19:20], v[15:16], v[17:18], s[8:9]
	s_mov_b32 s8, 0x6a5dcb37
	s_mov_b32 s9, 0x3e5ade15
	s_delay_alu instid0(VALU_DEP_1) | instskip(SKIP_2) | instid1(VALU_DEP_1)
	v_add_f64 v[19:20], v[19:20], s[6:7]
	s_mov_b32 s6, 0x93f65eba
	s_mov_b32 s7, 0x3cdee6d8
	v_fma_f64 v[17:18], v[15:16], v[19:20], -v[17:18]
	s_delay_alu instid0(VALU_DEP_1) | instskip(SKIP_2) | instid1(VALU_DEP_1)
	v_add_f64 v[17:18], v[17:18], s[6:7]
	s_mov_b32 s6, 0xc297fbeb
	s_mov_b32 s7, 0xbd0a5022
	v_fma_f64 v[19:20], v[15:16], v[17:18], -v[19:20]
	;; [unrolled: 5-line block ×20, first 2 shown]
	s_delay_alu instid0(VALU_DEP_1) | instskip(SKIP_2) | instid1(SALU_CYCLE_1)
	v_add_f64 v[19:20], v[19:20], s[6:7]
	s_mov_b32 s6, 0x652b82fe
	s_mov_b32 s7, 0x3ff71547
	v_mul_f64 v[21:22], v[13:14], s[6:7]
	s_mov_b32 s6, 0xf3dde3dd
	s_mov_b32 s7, 0x3f859961
	s_delay_alu instid0(VALU_DEP_2) | instskip(NEXT) | instid1(VALU_DEP_2)
	v_fma_f64 v[17:18], v[15:16], v[19:20], -v[17:18]
	v_rndne_f64_e32 v[21:22], v[21:22]
	s_delay_alu instid0(VALU_DEP_2)
	v_add_f64 v[17:18], v[17:18], s[6:7]
	s_mov_b32 s6, 0xfefa39ef
	s_mov_b32 s7, 0xbfe62e42
	s_delay_alu instid0(VALU_DEP_2) | instid1(SALU_CYCLE_1)
	v_fma_f64 v[23:24], v[21:22], s[6:7], v[13:14]
	s_mov_b32 s6, 0x3b39803f
	s_mov_b32 s7, 0xbc7abc9e
	v_cvt_i32_f64_e32 v4, v[21:22]
	s_delay_alu instid0(VALU_DEP_3) | instskip(NEXT) | instid1(VALU_DEP_3)
	v_fma_f64 v[19:20], v[15:16], v[17:18], -v[19:20]
	v_fma_f64 v[23:24], v[21:22], s[6:7], v[23:24]
	s_mov_b32 s6, 0xf121b6f0
	s_mov_b32 s7, 0xbf984e9e
	s_delay_alu instid0(VALU_DEP_2) | instid1(SALU_CYCLE_1)
	v_add_f64 v[19:20], v[19:20], s[6:7]
	s_mov_b32 s6, 0xfca7ab0c
	s_mov_b32 s7, 0x3e928af3
	s_delay_alu instid0(VALU_DEP_2) | instid1(SALU_CYCLE_1)
	v_fma_f64 v[25:26], v[23:24], s[8:9], s[6:7]
	s_mov_b32 s6, 0x623fde64
	s_mov_b32 s7, 0x3ec71dee
	s_delay_alu instid0(VALU_DEP_2) | instskip(NEXT) | instid1(VALU_DEP_2)
	v_fma_f64 v[17:18], v[15:16], v[19:20], -v[17:18]
	v_fma_f64 v[25:26], v[23:24], v[25:26], s[6:7]
	s_mov_b32 s6, 0xcea8a32d
	s_mov_b32 s7, 0x3fa93e8a
	s_delay_alu instid0(VALU_DEP_2) | instid1(SALU_CYCLE_1)
	v_add_f64 v[17:18], v[17:18], s[6:7]
	s_mov_b32 s6, 0x7c89e6b0
	s_mov_b32 s7, 0x3efa0199
	s_delay_alu instid0(VALU_DEP_2) | instid1(SALU_CYCLE_1)
	v_fma_f64 v[25:26], v[23:24], v[25:26], s[6:7]
	s_mov_b32 s6, 0x14761f6e
	s_mov_b32 s7, 0x3f2a01a0
	s_delay_alu instid0(VALU_DEP_2) | instskip(NEXT) | instid1(VALU_DEP_2)
	;; [unrolled: 13-line block ×5, first 2 shown]
	v_fma_f64 v[15:16], v[15:16], v[19:20], -v[17:18]
	v_fma_f64 v[19:20], v[23:24], v[25:26], 1.0
	s_delay_alu instid0(VALU_DEP_2) | instskip(NEXT) | instid1(VALU_DEP_2)
	v_add_f64 v[15:16], v[15:16], s[6:7]
	v_fma_f64 v[19:20], v[23:24], v[19:20], 1.0
	s_delay_alu instid0(VALU_DEP_2) | instskip(NEXT) | instid1(VALU_DEP_2)
	v_add_f64 v[15:16], v[15:16], -v[17:18]
	v_ldexp_f64 v[17:18], v[19:20], v4
	s_delay_alu instid0(VALU_DEP_2) | instskip(NEXT) | instid1(VALU_DEP_2)
	v_mul_f64 v[15:16], v[15:16], 0.5
	v_cndmask_b32_e32 v18, 0x7ff00000, v18, vcc_lo
	s_delay_alu instid0(VALU_DEP_3) | instskip(NEXT) | instid1(VALU_DEP_1)
	v_cndmask_b32_e32 v17, 0, v17, vcc_lo
	v_mul_f64 v[15:16], v[17:18], v[15:16]
.LBB7_109:
	s_and_not1_saveexec_b32 s6, s0
	s_cbranch_execz .LBB7_111
; %bb.110:
	v_div_scale_f64 v[15:16], null, v[13:14], v[13:14], 0x40400000
	v_div_scale_f64 v[21:22], vcc_lo, 0x40400000, v[13:14], 0x40400000
	s_mov_b32 s8, 0x66119130
	s_mov_b32 s9, 0xbc5646da
	;; [unrolled: 1-line block ×4, first 2 shown]
	v_cmp_nlt_f64_e64 s0, 0x40900000, v[13:14]
	s_delay_alu instid0(VALU_DEP_3) | instskip(SKIP_2) | instid1(VALU_DEP_1)
	v_rcp_f64_e32 v[17:18], v[15:16]
	s_waitcnt_depctr 0xfff
	v_fma_f64 v[19:20], -v[15:16], v[17:18], 1.0
	v_fma_f64 v[17:18], v[17:18], v[19:20], v[17:18]
	s_delay_alu instid0(VALU_DEP_1) | instskip(NEXT) | instid1(VALU_DEP_1)
	v_fma_f64 v[19:20], -v[15:16], v[17:18], 1.0
	v_fma_f64 v[17:18], v[17:18], v[19:20], v[17:18]
	s_delay_alu instid0(VALU_DEP_1) | instskip(NEXT) | instid1(VALU_DEP_1)
	v_mul_f64 v[19:20], v[21:22], v[17:18]
	v_fma_f64 v[15:16], -v[15:16], v[19:20], v[21:22]
	s_delay_alu instid0(VALU_DEP_1) | instskip(SKIP_1) | instid1(VALU_DEP_2)
	v_div_fmas_f64 v[15:16], v[15:16], v[17:18], v[19:20]
	v_cmp_gt_f64_e32 vcc_lo, 0x10000000, v[13:14]
	v_div_fixup_f64 v[15:16], v[15:16], v[13:14], 0x40400000
	v_cndmask_b32_e64 v4, 0, 1, vcc_lo
	s_delay_alu instid0(VALU_DEP_1) | instskip(NEXT) | instid1(VALU_DEP_1)
	v_lshlrev_b32_e32 v4, 8, v4
	v_ldexp_f64 v[27:28], v[13:14], v4
	s_delay_alu instid0(VALU_DEP_4) | instskip(NEXT) | instid1(VALU_DEP_2)
	v_add_f64 v[15:16], v[15:16], -2.0
	v_rsq_f64_e32 v[29:30], v[27:28]
	s_delay_alu instid0(VALU_DEP_1)
	v_fma_f64 v[17:18], v[15:16], s[10:11], s[8:9]
	s_mov_b32 s11, 0x3c60adb7
	s_mov_b32 s8, 0x12d98421
	;; [unrolled: 1-line block ×3, first 2 shown]
	s_waitcnt_depctr 0xfff
	v_mul_f64 v[31:32], v[27:28], v[29:30]
	v_mul_f64 v[29:30], v[29:30], 0.5
	v_fma_f64 v[19:20], v[15:16], v[17:18], s[10:11]
	s_mov_b32 s10, 0x6a5dcb37
	s_mov_b32 s11, 0x3e5ade15
	s_delay_alu instid0(VALU_DEP_2) | instskip(NEXT) | instid1(VALU_DEP_2)
	v_fma_f64 v[33:34], -v[29:30], v[31:32], 0.5
	v_add_f64 v[19:20], v[19:20], s[8:9]
	s_mov_b32 s8, 0x76041cd
	s_mov_b32 s9, 0x3c83f3dd
	s_delay_alu instid0(VALU_DEP_2) | instskip(SKIP_1) | instid1(VALU_DEP_3)
	v_fma_f64 v[31:32], v[31:32], v[33:34], v[31:32]
	v_fma_f64 v[29:30], v[29:30], v[33:34], v[29:30]
	v_fma_f64 v[17:18], v[15:16], v[19:20], -v[17:18]
	s_delay_alu instid0(VALU_DEP_3) | instskip(NEXT) | instid1(VALU_DEP_2)
	v_fma_f64 v[33:34], -v[31:32], v[31:32], v[27:28]
	v_add_f64 v[17:18], v[17:18], s[8:9]
	s_mov_b32 s8, 0xabd21fe4
	s_mov_b32 s9, 0xbcb4600b
	s_delay_alu instid0(VALU_DEP_1) | instskip(NEXT) | instid1(VALU_DEP_1)
	v_fma_f64 v[19:20], v[15:16], v[17:18], -v[19:20]
	v_add_f64 v[19:20], v[19:20], s[8:9]
	s_mov_b32 s8, 0xd908de38
	s_mov_b32 s9, 0xbcb8aee7
	s_delay_alu instid0(VALU_DEP_1) | instskip(NEXT) | instid1(VALU_DEP_1)
	v_fma_f64 v[17:18], v[15:16], v[19:20], -v[17:18]
	;; [unrolled: 5-line block ×14, first 2 shown]
	v_add_f64 v[17:18], v[17:18], s[8:9]
	s_mov_b32 s8, 0x652b82fe
	s_mov_b32 s9, 0x3ff71547
	s_delay_alu instid0(SALU_CYCLE_1) | instskip(SKIP_2) | instid1(VALU_DEP_2)
	v_mul_f64 v[21:22], v[13:14], s[8:9]
	s_mov_b32 s8, 0xa9225b87
	s_mov_b32 s9, 0x3e2d2c64
	v_fma_f64 v[19:20], v[15:16], v[17:18], -v[19:20]
	s_delay_alu instid0(VALU_DEP_2) | instskip(NEXT) | instid1(VALU_DEP_2)
	v_rndne_f64_e32 v[21:22], v[21:22]
	v_add_f64 v[19:20], v[19:20], s[8:9]
	s_mov_b32 s8, 0xfefa39ef
	s_mov_b32 s9, 0xbfe62e42
	s_delay_alu instid0(VALU_DEP_2) | instid1(SALU_CYCLE_1)
	v_fma_f64 v[23:24], v[21:22], s[8:9], v[13:14]
	s_mov_b32 s8, 0x3b39803f
	s_mov_b32 s9, 0xbc7abc9e
	v_cvt_i32_f64_e32 v4, v[21:22]
	s_delay_alu instid0(VALU_DEP_3) | instskip(NEXT) | instid1(VALU_DEP_3)
	v_fma_f64 v[17:18], v[15:16], v[19:20], -v[17:18]
	v_fma_f64 v[23:24], v[21:22], s[8:9], v[23:24]
	s_mov_b32 s8, 0x80d6d56d
	s_mov_b32 s9, 0x3e585692
	s_delay_alu instid0(VALU_DEP_2) | instid1(SALU_CYCLE_1)
	v_add_f64 v[17:18], v[17:18], s[8:9]
	s_mov_b32 s8, 0xfca7ab0c
	s_mov_b32 s9, 0x3e928af3
	s_delay_alu instid0(VALU_DEP_2) | instid1(SALU_CYCLE_1)
	v_fma_f64 v[25:26], v[23:24], s[10:11], s[8:9]
	s_mov_b32 s8, 0x623fde64
	s_mov_b32 s9, 0x3ec71dee
	s_delay_alu instid0(VALU_DEP_2) | instskip(NEXT) | instid1(VALU_DEP_2)
	v_fma_f64 v[19:20], v[15:16], v[17:18], -v[19:20]
	v_fma_f64 v[25:26], v[23:24], v[25:26], s[8:9]
	s_mov_b32 s8, 0xd9cd616e
	s_mov_b32 s9, 0x3e8b8007
	s_delay_alu instid0(VALU_DEP_2) | instid1(SALU_CYCLE_1)
	v_add_f64 v[19:20], v[19:20], s[8:9]
	s_mov_b32 s8, 0x7c89e6b0
	s_mov_b32 s9, 0x3efa0199
	s_delay_alu instid0(VALU_DEP_2) | instid1(SALU_CYCLE_1)
	v_fma_f64 v[25:26], v[23:24], v[25:26], s[8:9]
	s_mov_b32 s8, 0x14761f6e
	s_mov_b32 s9, 0x3f2a01a0
	s_delay_alu instid0(VALU_DEP_2) | instskip(NEXT) | instid1(VALU_DEP_2)
	;; [unrolled: 13-line block ×4, first 2 shown]
	v_fma_f64 v[17:18], v[15:16], v[19:20], -v[17:18]
	v_fma_f64 v[25:26], v[23:24], v[25:26], s[8:9]
	s_mov_b32 s8, 0xa2e59049
	s_mov_b32 s9, 0x3f6b998c
	s_delay_alu instid0(VALU_DEP_2) | instid1(SALU_CYCLE_1)
	v_add_f64 v[17:18], v[17:18], s[8:9]
	s_mov_b32 s8, 11
	s_mov_b32 s9, 0x3fe00000
	s_delay_alu instid0(VALU_DEP_2) | instid1(SALU_CYCLE_1)
	v_fma_f64 v[25:26], v[23:24], v[25:26], s[8:9]
	s_mov_b32 s8, 0xaca809cb
	s_mov_b32 s9, 0x3fe9be62
	s_delay_alu instid0(VALU_DEP_2) | instskip(SKIP_1) | instid1(VALU_DEP_3)
	v_fma_f64 v[15:16], v[15:16], v[17:18], -v[19:20]
	v_fma_f64 v[17:18], v[33:34], v[29:30], v[31:32]
	v_fma_f64 v[25:26], v[23:24], v[25:26], 1.0
	s_delay_alu instid0(VALU_DEP_3) | instskip(NEXT) | instid1(VALU_DEP_3)
	v_add_f64 v[15:16], v[15:16], s[8:9]
	v_fma_f64 v[21:22], -v[17:18], v[17:18], v[27:28]
	s_delay_alu instid0(VALU_DEP_3) | instskip(NEXT) | instid1(VALU_DEP_3)
	v_fma_f64 v[23:24], v[23:24], v[25:26], 1.0
	v_add_f64 v[15:16], v[15:16], -v[19:20]
	s_delay_alu instid0(VALU_DEP_3) | instskip(NEXT) | instid1(VALU_DEP_3)
	v_fma_f64 v[17:18], v[21:22], v[29:30], v[17:18]
	v_ldexp_f64 v[19:20], v[23:24], v4
	v_cndmask_b32_e64 v4, 0, 0xffffff80, vcc_lo
	v_cmp_class_f64_e64 vcc_lo, v[27:28], 0x260
	v_mul_f64 v[15:16], v[15:16], 0.5
	s_delay_alu instid0(VALU_DEP_3) | instskip(SKIP_2) | instid1(VALU_DEP_1)
	v_ldexp_f64 v[17:18], v[17:18], v4
	v_cndmask_b32_e64 v20, 0x7ff00000, v20, s0
	v_cndmask_b32_e64 v19, 0, v19, s0
	v_mul_f64 v[15:16], v[19:20], v[15:16]
	s_delay_alu instid0(VALU_DEP_4) | instskip(NEXT) | instid1(VALU_DEP_1)
	v_dual_cndmask_b32 v17, v17, v27 :: v_dual_cndmask_b32 v18, v18, v28
	v_div_scale_f64 v[19:20], null, v[17:18], v[17:18], v[15:16]
	s_delay_alu instid0(VALU_DEP_1) | instskip(SKIP_2) | instid1(VALU_DEP_1)
	v_rcp_f64_e32 v[21:22], v[19:20]
	s_waitcnt_depctr 0xfff
	v_fma_f64 v[23:24], -v[19:20], v[21:22], 1.0
	v_fma_f64 v[21:22], v[21:22], v[23:24], v[21:22]
	s_delay_alu instid0(VALU_DEP_1) | instskip(NEXT) | instid1(VALU_DEP_1)
	v_fma_f64 v[23:24], -v[19:20], v[21:22], 1.0
	v_fma_f64 v[21:22], v[21:22], v[23:24], v[21:22]
	v_div_scale_f64 v[23:24], vcc_lo, v[15:16], v[17:18], v[15:16]
	s_delay_alu instid0(VALU_DEP_1) | instskip(NEXT) | instid1(VALU_DEP_1)
	v_mul_f64 v[25:26], v[23:24], v[21:22]
	v_fma_f64 v[19:20], -v[19:20], v[25:26], v[23:24]
	s_delay_alu instid0(VALU_DEP_1) | instskip(NEXT) | instid1(VALU_DEP_1)
	v_div_fmas_f64 v[19:20], v[19:20], v[21:22], v[25:26]
	v_div_fixup_f64 v[15:16], v[19:20], v[17:18], v[15:16]
.LBB7_111:
	s_or_b32 exec_lo, exec_lo, s6
	s_delay_alu instid0(VALU_DEP_2)
	v_frexp_mant_f64_e32 v[17:18], v[9:10]
	s_mov_b32 s7, 0x3fe55555
	s_mov_b32 s6, 0x55555555
	v_frexp_exp_i32_f64_e32 v4, v[9:10]
	s_mov_b32 s8, 0x6b47b09a
	s_mov_b32 s10, 0xbf559e2b
	;; [unrolled: 1-line block ×4, first 2 shown]
	v_fma_f64 v[13:14], v[13:14], v[13:14], -2.0
	s_delay_alu instid0(VALU_DEP_3) | instskip(SKIP_2) | instid1(VALU_DEP_4)
	v_cmp_gt_f64_e32 vcc_lo, s[6:7], v[17:18]
	s_mov_b32 s6, 0x55555780
	v_cndmask_b32_e64 v20, 0x3ff00000, 2.0, vcc_lo
	v_subrev_co_ci_u32_e32 v4, vcc_lo, 0, v4, vcc_lo
	v_cmp_eq_f64_e32 vcc_lo, 0x7ff00000, v[9:10]
	v_mov_b32_e32 v19, 0
	s_delay_alu instid0(VALU_DEP_1) | instskip(NEXT) | instid1(VALU_DEP_1)
	v_mul_f64 v[17:18], v[17:18], v[19:20]
	v_add_f64 v[19:20], v[17:18], 1.0
	v_add_f64 v[25:26], v[17:18], -1.0
	s_delay_alu instid0(VALU_DEP_2) | instskip(SKIP_1) | instid1(VALU_DEP_1)
	v_rcp_f64_e32 v[21:22], v[19:20]
	v_add_f64 v[27:28], v[19:20], -1.0
	v_add_f64 v[17:18], v[17:18], -v[27:28]
	s_waitcnt_depctr 0xfff
	v_fma_f64 v[23:24], -v[19:20], v[21:22], 1.0
	s_delay_alu instid0(VALU_DEP_1) | instskip(NEXT) | instid1(VALU_DEP_1)
	v_fma_f64 v[21:22], v[23:24], v[21:22], v[21:22]
	v_fma_f64 v[23:24], -v[19:20], v[21:22], 1.0
	s_delay_alu instid0(VALU_DEP_1) | instskip(NEXT) | instid1(VALU_DEP_1)
	v_fma_f64 v[21:22], v[23:24], v[21:22], v[21:22]
	v_mul_f64 v[23:24], v[25:26], v[21:22]
	s_delay_alu instid0(VALU_DEP_1) | instskip(NEXT) | instid1(VALU_DEP_1)
	v_mul_f64 v[29:30], v[19:20], v[23:24]
	v_fma_f64 v[19:20], v[23:24], v[19:20], -v[29:30]
	s_delay_alu instid0(VALU_DEP_1) | instskip(NEXT) | instid1(VALU_DEP_1)
	v_fma_f64 v[17:18], v[23:24], v[17:18], v[19:20]
	v_add_f64 v[19:20], v[29:30], v[17:18]
	s_delay_alu instid0(VALU_DEP_1) | instskip(SKIP_1) | instid1(VALU_DEP_2)
	v_add_f64 v[27:28], v[25:26], -v[19:20]
	v_add_f64 v[29:30], v[19:20], -v[29:30]
	;; [unrolled: 1-line block ×3, first 2 shown]
	s_delay_alu instid0(VALU_DEP_2) | instskip(NEXT) | instid1(VALU_DEP_2)
	v_add_f64 v[17:18], v[29:30], -v[17:18]
	v_add_f64 v[19:20], v[25:26], -v[19:20]
	s_delay_alu instid0(VALU_DEP_1) | instskip(NEXT) | instid1(VALU_DEP_1)
	v_add_f64 v[17:18], v[17:18], v[19:20]
	v_add_f64 v[17:18], v[27:28], v[17:18]
	s_delay_alu instid0(VALU_DEP_1) | instskip(NEXT) | instid1(VALU_DEP_1)
	v_mul_f64 v[17:18], v[21:22], v[17:18]
	v_add_f64 v[19:20], v[23:24], v[17:18]
	s_delay_alu instid0(VALU_DEP_1) | instskip(NEXT) | instid1(VALU_DEP_1)
	v_mul_f64 v[21:22], v[19:20], v[19:20]
	v_fma_f64 v[25:26], v[21:22], s[10:11], s[8:9]
	s_mov_b32 s8, 0xd7f4df2e
	s_mov_b32 s9, 0x3fc7474d
	v_mul_f64 v[27:28], v[19:20], v[21:22]
	s_delay_alu instid0(VALU_DEP_2)
	v_fma_f64 v[25:26], v[21:22], v[25:26], s[8:9]
	s_mov_b32 s8, 0x16291751
	s_mov_b32 s9, 0x3fcc71c0
	s_delay_alu instid0(VALU_DEP_1) | instid1(SALU_CYCLE_1)
	v_fma_f64 v[25:26], v[21:22], v[25:26], s[8:9]
	s_mov_b32 s8, 0x9b27acf1
	s_mov_b32 s9, 0x3fd24924
	s_delay_alu instid0(VALU_DEP_1) | instid1(SALU_CYCLE_1)
	;; [unrolled: 4-line block ×3, first 2 shown]
	v_fma_f64 v[25:26], v[21:22], v[25:26], s[8:9]
	s_mov_b32 s9, 0x3ca3cee1
	s_mov_b32 s8, 0xe6a7fd77
	s_delay_alu instid0(VALU_DEP_1) | instskip(SKIP_4) | instid1(SALU_CYCLE_1)
	v_fma_f64 v[21:22], v[21:22], v[25:26], s[6:7]
	v_ldexp_f64 v[25:26], v[19:20], 1
	v_add_f64 v[19:20], v[19:20], -v[23:24]
	s_mov_b32 s6, 0xc384c2aa
	s_mov_b32 s7, 0x3d27fb0a
	v_fma_f64 v[29:30], v[13:14], s[8:9], s[6:7]
	s_mov_b32 s6, 0xfefa39ef
	s_mov_b32 s7, 0x3fe62e42
	;; [unrolled: 1-line block ×3, first 2 shown]
	s_delay_alu instid0(VALU_DEP_4) | instskip(SKIP_1) | instid1(VALU_DEP_4)
	v_mul_f64 v[21:22], v[27:28], v[21:22]
	v_cvt_f64_i32_e32 v[27:28], v4
	v_add_f64 v[17:18], v[17:18], -v[19:20]
	s_delay_alu instid0(VALU_DEP_3) | instskip(NEXT) | instid1(VALU_DEP_3)
	v_add_f64 v[23:24], v[25:26], v[21:22]
	v_mul_f64 v[31:32], v[27:28], s[6:7]
	s_delay_alu instid0(VALU_DEP_3) | instskip(NEXT) | instid1(VALU_DEP_3)
	v_ldexp_f64 v[17:18], v[17:18], 1
	v_add_f64 v[19:20], v[23:24], -v[25:26]
	v_fma_f64 v[25:26], v[13:14], v[29:30], s[8:9]
	s_delay_alu instid0(VALU_DEP_4) | instskip(SKIP_2) | instid1(VALU_DEP_3)
	v_fma_f64 v[33:34], v[27:28], s[6:7], -v[31:32]
	s_mov_b32 s6, 0x47512144
	s_mov_b32 s7, 0x3da6c25c
	v_add_f64 v[19:20], v[21:22], -v[19:20]
	s_delay_alu instid0(VALU_DEP_3)
	v_add_f64 v[21:22], v[25:26], s[6:7]
	s_mov_b32 s6, 0x3b39803f
	s_mov_b32 s7, 0x3c7abc9e
	s_delay_alu instid0(VALU_DEP_3) | instid1(SALU_CYCLE_1)
	v_fma_f64 v[25:26], v[27:28], s[6:7], v[33:34]
	s_mov_b32 s6, 0x67e58a13
	s_mov_b32 s7, 0x3e205c13
	s_delay_alu instid0(VALU_DEP_3) | instskip(NEXT) | instid1(VALU_DEP_3)
	v_add_f64 v[17:18], v[17:18], v[19:20]
	v_fma_f64 v[19:20], v[13:14], v[21:22], -v[29:30]
	s_delay_alu instid0(VALU_DEP_3) | instskip(NEXT) | instid1(VALU_DEP_3)
	v_add_f64 v[27:28], v[31:32], v[25:26]
	v_add_f64 v[29:30], v[23:24], v[17:18]
	s_delay_alu instid0(VALU_DEP_3) | instskip(SKIP_2) | instid1(VALU_DEP_3)
	v_add_f64 v[19:20], v[19:20], s[6:7]
	s_mov_b32 s6, 0xe7f95efc
	s_mov_b32 s7, 0x3e9102bc
	v_add_f64 v[31:32], v[27:28], -v[31:32]
	s_delay_alu instid0(VALU_DEP_3) | instskip(NEXT) | instid1(VALU_DEP_3)
	v_add_f64 v[33:34], v[27:28], v[29:30]
	v_fma_f64 v[21:22], v[13:14], v[19:20], -v[21:22]
	v_add_f64 v[23:24], v[29:30], -v[23:24]
	s_delay_alu instid0(VALU_DEP_4) | instskip(NEXT) | instid1(VALU_DEP_4)
	v_add_f64 v[25:26], v[25:26], -v[31:32]
	v_add_f64 v[35:36], v[33:34], -v[27:28]
	s_delay_alu instid0(VALU_DEP_4) | instskip(NEXT) | instid1(VALU_DEP_4)
	v_add_f64 v[21:22], v[21:22], s[6:7]
	v_add_f64 v[17:18], v[17:18], -v[23:24]
	s_mov_b32 s6, 0xfe8cfca0
	s_mov_b32 s7, 0x3ef7f900
	s_delay_alu instid0(VALU_DEP_3) | instskip(NEXT) | instid1(VALU_DEP_3)
	v_add_f64 v[37:38], v[33:34], -v[35:36]
	v_fma_f64 v[19:20], v[13:14], v[21:22], -v[19:20]
	v_add_f64 v[23:24], v[29:30], -v[35:36]
	s_delay_alu instid0(VALU_DEP_4) | instskip(NEXT) | instid1(VALU_DEP_4)
	v_add_f64 v[29:30], v[25:26], v[17:18]
	v_add_f64 v[27:28], v[27:28], -v[37:38]
	s_delay_alu instid0(VALU_DEP_4) | instskip(SKIP_2) | instid1(VALU_DEP_2)
	v_add_f64 v[19:20], v[19:20], s[6:7]
	s_mov_b32 s6, 0x75633d73
	s_mov_b32 s7, 0x3f54b82e
	v_add_f64 v[23:24], v[23:24], v[27:28]
	s_delay_alu instid0(VALU_DEP_2) | instskip(SKIP_1) | instid1(VALU_DEP_3)
	v_fma_f64 v[21:22], v[13:14], v[19:20], -v[21:22]
	v_add_f64 v[27:28], v[29:30], -v[25:26]
	v_add_f64 v[23:24], v[29:30], v[23:24]
	s_delay_alu instid0(VALU_DEP_3) | instskip(NEXT) | instid1(VALU_DEP_3)
	v_add_f64 v[21:22], v[21:22], s[6:7]
	v_add_f64 v[29:30], v[29:30], -v[27:28]
	v_add_f64 v[17:18], v[17:18], -v[27:28]
	s_mov_b32 s6, 0x554a9085
	s_mov_b32 s7, 0x3fa26bf6
	s_delay_alu instid0(VALU_DEP_4) | instskip(NEXT) | instid1(VALU_DEP_4)
	v_add_f64 v[31:32], v[33:34], v[23:24]
	v_fma_f64 v[19:20], v[13:14], v[21:22], -v[19:20]
	s_delay_alu instid0(VALU_DEP_4) | instskip(NEXT) | instid1(VALU_DEP_3)
	v_add_f64 v[25:26], v[25:26], -v[29:30]
	v_add_f64 v[27:28], v[31:32], -v[33:34]
	s_delay_alu instid0(VALU_DEP_3) | instskip(NEXT) | instid1(VALU_DEP_3)
	v_add_f64 v[19:20], v[19:20], s[6:7]
	v_add_f64 v[17:18], v[17:18], v[25:26]
	s_mov_b32 s6, 0x81213db9
	s_mov_b32 s7, 0x3fd608d8
	s_delay_alu instid0(VALU_DEP_3) | instskip(NEXT) | instid1(VALU_DEP_3)
	v_add_f64 v[23:24], v[23:24], -v[27:28]
	v_fma_f64 v[21:22], v[13:14], v[19:20], -v[21:22]
	s_delay_alu instid0(VALU_DEP_2) | instskip(NEXT) | instid1(VALU_DEP_2)
	v_add_f64 v[17:18], v[17:18], v[23:24]
	v_add_f64 v[21:22], v[21:22], s[6:7]
	s_mov_b32 s6, 0xe9d2f61f
	s_mov_b32 s7, 0xbfe12166
	s_delay_alu instid0(VALU_DEP_2) | instskip(NEXT) | instid1(VALU_DEP_2)
	v_add_f64 v[17:18], v[31:32], v[17:18]
	v_fma_f64 v[13:14], v[13:14], v[21:22], -v[19:20]
	s_delay_alu instid0(VALU_DEP_2) | instskip(SKIP_1) | instid1(VALU_DEP_3)
	v_dual_cndmask_b32 v4, v17, v9 :: v_dual_cndmask_b32 v17, v18, v10
	v_cmp_neq_f64_e32 vcc_lo, 0, v[9:10]
	v_add_f64 v[9:10], v[13:14], s[6:7]
	s_delay_alu instid0(VALU_DEP_3) | instskip(NEXT) | instid1(VALU_DEP_4)
	v_cndmask_b32_e32 v14, 0xfff00000, v17, vcc_lo
	v_cndmask_b32_e32 v13, 0, v4, vcc_lo
	s_delay_alu instid0(VALU_DEP_3) | instskip(NEXT) | instid1(VALU_DEP_2)
	v_add_f64 v[9:10], v[9:10], -v[19:20]
	v_mul_f64 v[13:14], v[13:14], v[15:16]
	s_delay_alu instid0(VALU_DEP_1)
	v_fma_f64 v[9:10], v[9:10], 0.5, -v[13:14]
                                        ; implicit-def: $vgpr13_vgpr14
.LBB7_112:
	s_and_not1_saveexec_b32 s3, s3
	s_cbranch_execz .LBB7_114
; %bb.113:
	v_div_scale_f64 v[9:10], null, v[13:14], v[13:14], 0x40200000
	v_div_scale_f64 v[19:20], vcc_lo, 0x40200000, v[13:14], 0x40200000
	s_mov_b32 s6, 0x93812603
	s_mov_b32 s7, 0xbc72fecc
	;; [unrolled: 1-line block ×4, first 2 shown]
	v_cmp_nlt_f64_e64 s0, 0x4090cc00, v[13:14]
	s_delay_alu instid0(VALU_DEP_3) | instskip(SKIP_2) | instid1(VALU_DEP_1)
	v_rcp_f64_e32 v[15:16], v[9:10]
	s_waitcnt_depctr 0xfff
	v_fma_f64 v[17:18], -v[9:10], v[15:16], 1.0
	v_fma_f64 v[15:16], v[15:16], v[17:18], v[15:16]
	s_delay_alu instid0(VALU_DEP_1) | instskip(NEXT) | instid1(VALU_DEP_1)
	v_fma_f64 v[17:18], -v[9:10], v[15:16], 1.0
	v_fma_f64 v[15:16], v[15:16], v[17:18], v[15:16]
	s_delay_alu instid0(VALU_DEP_1) | instskip(NEXT) | instid1(VALU_DEP_1)
	v_mul_f64 v[17:18], v[19:20], v[15:16]
	v_fma_f64 v[9:10], -v[9:10], v[17:18], v[19:20]
	s_delay_alu instid0(VALU_DEP_1) | instskip(SKIP_1) | instid1(VALU_DEP_2)
	v_div_fmas_f64 v[9:10], v[9:10], v[15:16], v[17:18]
	v_cmp_gt_f64_e32 vcc_lo, 0x10000000, v[13:14]
	v_div_fixup_f64 v[9:10], v[9:10], v[13:14], 0x40200000
	v_cndmask_b32_e64 v4, 0, 1, vcc_lo
	s_delay_alu instid0(VALU_DEP_1) | instskip(NEXT) | instid1(VALU_DEP_1)
	v_lshlrev_b32_e32 v4, 8, v4
	v_ldexp_f64 v[25:26], v[13:14], v4
	s_delay_alu instid0(VALU_DEP_4) | instskip(NEXT) | instid1(VALU_DEP_2)
	v_add_f64 v[9:10], v[9:10], -2.0
	v_rsq_f64_e32 v[27:28], v[25:26]
	s_delay_alu instid0(VALU_DEP_1)
	v_fma_f64 v[15:16], v[9:10], s[8:9], s[6:7]
	s_mov_b32 s9, 0xbc5871a5
	s_mov_b32 s6, 0x41a8cdf4
	s_mov_b32 s7, 0x3c8e092e
	s_waitcnt_depctr 0xfff
	v_mul_f64 v[29:30], v[25:26], v[27:28]
	v_mul_f64 v[27:28], v[27:28], 0.5
	v_fma_f64 v[17:18], v[9:10], v[15:16], s[8:9]
	s_mov_b32 s8, 0x6a5dcb37
	s_mov_b32 s9, 0x3e5ade15
	s_delay_alu instid0(VALU_DEP_2) | instskip(NEXT) | instid1(VALU_DEP_2)
	v_fma_f64 v[31:32], -v[27:28], v[29:30], 0.5
	v_add_f64 v[17:18], v[17:18], s[6:7]
	s_mov_b32 s6, 0x74d77641
	s_mov_b32 s7, 0xbca82f94
	s_delay_alu instid0(VALU_DEP_2) | instskip(SKIP_1) | instid1(VALU_DEP_3)
	v_fma_f64 v[29:30], v[29:30], v[31:32], v[29:30]
	v_fma_f64 v[27:28], v[27:28], v[31:32], v[27:28]
	v_fma_f64 v[15:16], v[9:10], v[17:18], -v[15:16]
	s_delay_alu instid0(VALU_DEP_3) | instskip(NEXT) | instid1(VALU_DEP_2)
	v_fma_f64 v[31:32], -v[29:30], v[29:30], v[25:26]
	v_add_f64 v[15:16], v[15:16], s[6:7]
	s_mov_b32 s6, 0x6b94785b
	s_mov_b32 s7, 0x3cc3dbf9
	s_delay_alu instid0(VALU_DEP_1) | instskip(NEXT) | instid1(VALU_DEP_1)
	v_fma_f64 v[17:18], v[9:10], v[15:16], -v[17:18]
	v_add_f64 v[17:18], v[17:18], s[6:7]
	s_mov_b32 s6, 0xecfadd36
	s_mov_b32 s7, 0xbce0a690
	s_delay_alu instid0(VALU_DEP_1) | instskip(NEXT) | instid1(VALU_DEP_1)
	v_fma_f64 v[15:16], v[9:10], v[17:18], -v[15:16]
	;; [unrolled: 5-line block ×14, first 2 shown]
	v_add_f64 v[15:16], v[15:16], s[6:7]
	s_mov_b32 s6, 0x652b82fe
	s_mov_b32 s7, 0xbff71547
	s_delay_alu instid0(SALU_CYCLE_1) | instskip(SKIP_2) | instid1(VALU_DEP_2)
	v_mul_f64 v[19:20], v[13:14], s[6:7]
	s_mov_b32 s6, 0x81e3e46f
	s_mov_b32 s7, 0x3e929159
	v_fma_f64 v[17:18], v[9:10], v[15:16], -v[17:18]
	s_delay_alu instid0(VALU_DEP_2) | instskip(NEXT) | instid1(VALU_DEP_2)
	v_rndne_f64_e32 v[19:20], v[19:20]
	v_add_f64 v[17:18], v[17:18], s[6:7]
	s_mov_b32 s6, 0xfefa39ef
	s_mov_b32 s7, 0xbfe62e42
	s_delay_alu instid0(VALU_DEP_2) | instid1(SALU_CYCLE_1)
	v_fma_f64 v[21:22], v[19:20], s[6:7], -v[13:14]
	s_mov_b32 s6, 0x3b39803f
	s_mov_b32 s7, 0xbc7abc9e
	v_cvt_i32_f64_e32 v4, v[19:20]
	s_delay_alu instid0(VALU_DEP_3) | instskip(NEXT) | instid1(VALU_DEP_3)
	v_fma_f64 v[15:16], v[9:10], v[17:18], -v[15:16]
	v_fma_f64 v[21:22], v[19:20], s[6:7], v[21:22]
	s_mov_b32 s6, 0x7f18d3a9
	s_mov_b32 s7, 0xbebebb54
	s_delay_alu instid0(VALU_DEP_2) | instid1(SALU_CYCLE_1)
	v_add_f64 v[15:16], v[15:16], s[6:7]
	s_mov_b32 s6, 0xfca7ab0c
	s_mov_b32 s7, 0x3e928af3
	s_delay_alu instid0(VALU_DEP_2) | instid1(SALU_CYCLE_1)
	v_fma_f64 v[23:24], v[21:22], s[8:9], s[6:7]
	s_mov_b32 s6, 0x623fde64
	s_mov_b32 s7, 0x3ec71dee
	s_delay_alu instid0(VALU_DEP_2) | instskip(NEXT) | instid1(VALU_DEP_2)
	v_fma_f64 v[17:18], v[9:10], v[15:16], -v[17:18]
	v_fma_f64 v[23:24], v[21:22], v[23:24], s[6:7]
	s_mov_b32 s6, 0xcc7470a9
	s_mov_b32 s7, 0x3eed413f
	s_delay_alu instid0(VALU_DEP_2) | instid1(SALU_CYCLE_1)
	v_add_f64 v[17:18], v[17:18], s[6:7]
	s_mov_b32 s6, 0x7c89e6b0
	s_mov_b32 s7, 0x3efa0199
	s_delay_alu instid0(VALU_DEP_2) | instid1(SALU_CYCLE_1)
	v_fma_f64 v[23:24], v[21:22], v[23:24], s[6:7]
	s_mov_b32 s6, 0x14761f6e
	s_mov_b32 s7, 0x3f2a01a0
	s_delay_alu instid0(VALU_DEP_2) | instskip(NEXT) | instid1(VALU_DEP_2)
	;; [unrolled: 13-line block ×4, first 2 shown]
	v_fma_f64 v[15:16], v[9:10], v[17:18], -v[15:16]
	v_fma_f64 v[23:24], v[21:22], v[23:24], s[6:7]
	s_mov_b32 s6, 0x2d4ff71e
	s_mov_b32 s7, 0xbfa019f7
	s_delay_alu instid0(VALU_DEP_2) | instid1(SALU_CYCLE_1)
	v_add_f64 v[15:16], v[15:16], s[6:7]
	s_mov_b32 s6, 11
	s_mov_b32 s7, 0x3fe00000
	s_delay_alu instid0(VALU_DEP_2) | instid1(SALU_CYCLE_1)
	v_fma_f64 v[23:24], v[21:22], v[23:24], s[6:7]
	s_mov_b32 s6, 0x9f4e6907
	s_mov_b32 s7, 0x400385bd
	s_delay_alu instid0(VALU_DEP_2) | instskip(SKIP_1) | instid1(VALU_DEP_3)
	v_fma_f64 v[9:10], v[9:10], v[15:16], -v[17:18]
	v_fma_f64 v[15:16], v[31:32], v[27:28], v[29:30]
	v_fma_f64 v[23:24], v[21:22], v[23:24], 1.0
	s_delay_alu instid0(VALU_DEP_3) | instskip(NEXT) | instid1(VALU_DEP_3)
	v_add_f64 v[9:10], v[9:10], s[6:7]
	v_fma_f64 v[19:20], -v[15:16], v[15:16], v[25:26]
	s_delay_alu instid0(VALU_DEP_3) | instskip(NEXT) | instid1(VALU_DEP_3)
	v_fma_f64 v[21:22], v[21:22], v[23:24], 1.0
	v_add_f64 v[9:10], v[9:10], -v[17:18]
	s_delay_alu instid0(VALU_DEP_3) | instskip(NEXT) | instid1(VALU_DEP_3)
	v_fma_f64 v[15:16], v[19:20], v[27:28], v[15:16]
	v_ldexp_f64 v[17:18], v[21:22], v4
	v_cndmask_b32_e64 v4, 0, 0xffffff80, vcc_lo
	v_cmp_class_f64_e64 vcc_lo, v[25:26], 0x260
	v_mul_f64 v[9:10], v[9:10], 0.5
	s_delay_alu instid0(VALU_DEP_3) | instskip(SKIP_2) | instid1(VALU_DEP_1)
	v_ldexp_f64 v[13:14], v[15:16], v4
	v_cndmask_b32_e64 v16, 0, v18, s0
	v_cndmask_b32_e64 v15, 0, v17, s0
	v_mul_f64 v[9:10], v[15:16], v[9:10]
	s_delay_alu instid0(VALU_DEP_4) | instskip(NEXT) | instid1(VALU_DEP_1)
	v_dual_cndmask_b32 v13, v13, v25 :: v_dual_cndmask_b32 v14, v14, v26
	v_div_scale_f64 v[15:16], null, v[13:14], v[13:14], v[9:10]
	s_delay_alu instid0(VALU_DEP_1) | instskip(SKIP_2) | instid1(VALU_DEP_1)
	v_rcp_f64_e32 v[17:18], v[15:16]
	s_waitcnt_depctr 0xfff
	v_fma_f64 v[19:20], -v[15:16], v[17:18], 1.0
	v_fma_f64 v[17:18], v[17:18], v[19:20], v[17:18]
	s_delay_alu instid0(VALU_DEP_1) | instskip(NEXT) | instid1(VALU_DEP_1)
	v_fma_f64 v[19:20], -v[15:16], v[17:18], 1.0
	v_fma_f64 v[17:18], v[17:18], v[19:20], v[17:18]
	v_div_scale_f64 v[19:20], vcc_lo, v[9:10], v[13:14], v[9:10]
	s_delay_alu instid0(VALU_DEP_1) | instskip(NEXT) | instid1(VALU_DEP_1)
	v_mul_f64 v[21:22], v[19:20], v[17:18]
	v_fma_f64 v[15:16], -v[15:16], v[21:22], v[19:20]
	s_delay_alu instid0(VALU_DEP_1) | instskip(NEXT) | instid1(VALU_DEP_1)
	v_div_fmas_f64 v[15:16], v[15:16], v[17:18], v[21:22]
	v_div_fixup_f64 v[9:10], v[15:16], v[13:14], v[9:10]
.LBB7_114:
	s_or_b32 exec_lo, exec_lo, s3
.LBB7_115:
	s_delay_alu instid0(SALU_CYCLE_1)
	s_or_b32 exec_lo, exec_lo, s2
.LBB7_116:
	s_delay_alu instid0(SALU_CYCLE_1)
	s_or_b32 exec_lo, exec_lo, s1
	s_clause 0x3
	global_store_b64 v0, v[7:8], s[4:5]
	global_store_b64 v1, v[5:6], s[4:5]
	;; [unrolled: 1-line block ×4, first 2 shown]
	s_nop 0
	s_sendmsg sendmsg(MSG_DEALLOC_VGPRS)
	s_endpgm
.LBB7_117:
	v_dual_mov_b32 v2, v7 :: v_dual_mov_b32 v1, 0
.LBB7_118:
	s_and_b32 s34, s34, 3
	s_delay_alu instid0(SALU_CYCLE_1)
	s_cmp_eq_u32 s34, 0
	s_cbranch_scc1 .LBB7_121
; %bb.119:
	s_lshl_b32 s2, s33, 3
	s_mul_i32 s20, s33, 12
	s_add_u32 s2, s2, s0
	s_addc_u32 s3, s1, 0
	s_add_u32 s2, s2, 0xc4
	s_addc_u32 s3, s3, 0
	;; [unrolled: 2-line block ×3, first 2 shown]
	.p2align	6
.LBB7_120:                              ; =>This Inner Loop Header: Depth=1
	s_clause 0x1
	s_load_b64 s[36:37], s[20:21], 0x4
	s_load_b32 s33, s[20:21], 0xc
	s_load_b64 s[38:39], s[2:3], 0x0
	s_add_u32 s20, s20, 12
	s_addc_u32 s21, s21, 0
	s_add_u32 s2, s2, 8
	s_addc_u32 s3, s3, 0
	s_add_i32 s34, s34, -1
	s_delay_alu instid0(SALU_CYCLE_1) | instskip(SKIP_2) | instid1(VALU_DEP_1)
	s_cmp_lg_u32 s34, 0
	s_waitcnt lgkmcnt(0)
	v_mul_hi_u32 v3, s37, v2
	v_add_nc_u32_e32 v3, v2, v3
	s_delay_alu instid0(VALU_DEP_1) | instskip(NEXT) | instid1(VALU_DEP_1)
	v_lshrrev_b32_e32 v6, s33, v3
	v_mul_lo_u32 v3, v6, s36
	s_delay_alu instid0(VALU_DEP_1) | instskip(NEXT) | instid1(VALU_DEP_1)
	v_sub_nc_u32_e32 v2, v2, v3
	v_mad_u64_u32 v[3:4], null, v2, s38, v[0:1]
	v_mad_u64_u32 v[4:5], null, v2, s39, v[1:2]
	v_mov_b32_e32 v2, v6
	s_delay_alu instid0(VALU_DEP_2)
	v_dual_mov_b32 v0, v3 :: v_dual_mov_b32 v1, v4
	s_cbranch_scc1 .LBB7_120
.LBB7_121:
	s_and_not1_b32 vcc_lo, exec_lo, s31
	s_cbranch_vccnz .LBB7_124
; %bb.122:
	s_waitcnt lgkmcnt(0)
	v_mul_hi_u32 v0, s13, v7
	s_and_not1_b32 vcc_lo, exec_lo, s26
	s_delay_alu instid0(VALU_DEP_1) | instskip(NEXT) | instid1(VALU_DEP_1)
	v_add_nc_u32_e32 v0, v7, v0
	v_lshrrev_b32_e32 v2, s14, v0
	s_delay_alu instid0(VALU_DEP_1) | instskip(NEXT) | instid1(VALU_DEP_1)
	v_mul_lo_u32 v0, v2, s12
	v_sub_nc_u32_e32 v1, v7, v0
	s_delay_alu instid0(VALU_DEP_1)
	v_mul_lo_u32 v0, v1, s8
	v_mul_lo_u32 v1, v1, s9
	s_cbranch_vccnz .LBB7_124
; %bb.123:
	v_mul_hi_u32 v3, s16, v2
	s_delay_alu instid0(VALU_DEP_1) | instskip(NEXT) | instid1(VALU_DEP_1)
	v_add_nc_u32_e32 v3, v2, v3
	v_lshrrev_b32_e32 v3, s17, v3
	s_delay_alu instid0(VALU_DEP_1) | instskip(NEXT) | instid1(VALU_DEP_1)
	v_mul_lo_u32 v3, v3, s15
	v_sub_nc_u32_e32 v5, v2, v3
	s_delay_alu instid0(VALU_DEP_1) | instskip(NEXT) | instid1(VALU_DEP_1)
	v_mad_u64_u32 v[2:3], null, v5, s10, v[0:1]
	v_mad_u64_u32 v[3:4], null, v5, s11, v[1:2]
	s_delay_alu instid0(VALU_DEP_1)
	v_dual_mov_b32 v0, v2 :: v_dual_mov_b32 v1, v3
.LBB7_124:
	s_waitcnt lgkmcnt(0)
	global_load_b64 v[1:2], v1, s[6:7]
	v_mov_b32_e32 v3, 0
	v_mov_b32_e32 v4, 0x7ff00000
	s_mov_b32 s3, exec_lo
	s_waitcnt vmcnt(0)
	v_cmpx_neq_f64_e32 0, v[1:2]
	s_cbranch_execz .LBB7_136
; %bb.125:
	v_mov_b32_e32 v3, 0
	v_mov_b32_e32 v4, 0x7ff80000
	s_mov_b32 s20, exec_lo
	v_cmpx_ngt_f64_e32 0, v[1:2]
	s_cbranch_execz .LBB7_135
; %bb.126:
                                        ; implicit-def: $vgpr3_vgpr4
	s_mov_b32 s2, exec_lo
	v_cmpx_ge_f64_e32 2.0, v[1:2]
	s_xor_b32 s21, exec_lo, s2
	s_cbranch_execz .LBB7_132
; %bb.127:
	v_mul_f64 v[3:4], v[1:2], 0.5
	s_mov_b32 s2, exec_lo
                                        ; implicit-def: $vgpr5_vgpr6
	v_cmpx_ge_f64_e32 0x40200000, v[1:2]
	s_xor_b32 s2, exec_lo, s2
	s_cbranch_execz .LBB7_129
; %bb.128:
	s_delay_alu instid0(VALU_DEP_2)
	v_add_f64 v[5:6], v[3:4], -2.0
	s_mov_b32 s34, 0x977da589
	s_mov_b32 s35, 0x3c833362
	;; [unrolled: 1-line block ×4, first 2 shown]
	v_cmp_nlt_f64_e32 vcc_lo, 0x40900000, v[1:2]
	s_delay_alu instid0(VALU_DEP_2) | instskip(SKIP_3) | instid1(VALU_DEP_1)
	v_fma_f64 v[8:9], v[5:6], s[36:37], s[34:35]
	s_mov_b32 s37, 0x3c545cb7
	s_mov_b32 s34, 0x721ebbb4
	;; [unrolled: 1-line block ×3, first 2 shown]
	v_fma_f64 v[10:11], v[5:6], v[8:9], s[36:37]
	s_mov_b32 s36, 0x6a5dcb37
	s_mov_b32 s37, 0x3e5ade15
	s_delay_alu instid0(VALU_DEP_1) | instskip(SKIP_2) | instid1(VALU_DEP_1)
	v_add_f64 v[10:11], v[10:11], s[34:35]
	s_mov_b32 s34, 0x93f65eba
	s_mov_b32 s35, 0x3cdee6d8
	v_fma_f64 v[8:9], v[5:6], v[10:11], -v[8:9]
	s_delay_alu instid0(VALU_DEP_1) | instskip(SKIP_2) | instid1(VALU_DEP_1)
	v_add_f64 v[8:9], v[8:9], s[34:35]
	s_mov_b32 s34, 0xc297fbeb
	s_mov_b32 s35, 0xbd0a5022
	v_fma_f64 v[10:11], v[5:6], v[8:9], -v[10:11]
	;; [unrolled: 5-line block ×20, first 2 shown]
	s_delay_alu instid0(VALU_DEP_1) | instskip(SKIP_2) | instid1(SALU_CYCLE_1)
	v_add_f64 v[10:11], v[10:11], s[34:35]
	s_mov_b32 s34, 0x652b82fe
	s_mov_b32 s35, 0x3ff71547
	v_mul_f64 v[12:13], v[1:2], s[34:35]
	s_mov_b32 s34, 0xf3dde3dd
	s_mov_b32 s35, 0x3f859961
	s_delay_alu instid0(VALU_DEP_2) | instskip(NEXT) | instid1(VALU_DEP_2)
	v_fma_f64 v[8:9], v[5:6], v[10:11], -v[8:9]
	v_rndne_f64_e32 v[12:13], v[12:13]
	s_delay_alu instid0(VALU_DEP_2)
	v_add_f64 v[8:9], v[8:9], s[34:35]
	s_mov_b32 s34, 0xfefa39ef
	s_mov_b32 s35, 0xbfe62e42
	s_delay_alu instid0(VALU_DEP_2) | instid1(SALU_CYCLE_1)
	v_fma_f64 v[14:15], v[12:13], s[34:35], v[1:2]
	s_mov_b32 s34, 0x3b39803f
	s_mov_b32 s35, 0xbc7abc9e
	s_delay_alu instid0(VALU_DEP_2) | instskip(NEXT) | instid1(VALU_DEP_2)
	v_fma_f64 v[10:11], v[5:6], v[8:9], -v[10:11]
	v_fma_f64 v[14:15], v[12:13], s[34:35], v[14:15]
	s_mov_b32 s34, 0xf121b6f0
	s_mov_b32 s35, 0xbf984e9e
	v_cvt_i32_f64_e32 v12, v[12:13]
	s_delay_alu instid0(VALU_DEP_3)
	v_add_f64 v[10:11], v[10:11], s[34:35]
	s_mov_b32 s34, 0xfca7ab0c
	s_mov_b32 s35, 0x3e928af3
	s_delay_alu instid0(VALU_DEP_3) | instid1(SALU_CYCLE_1)
	v_fma_f64 v[16:17], v[14:15], s[36:37], s[34:35]
	s_mov_b32 s34, 0x623fde64
	s_mov_b32 s35, 0x3ec71dee
	s_delay_alu instid0(VALU_DEP_2) | instskip(NEXT) | instid1(VALU_DEP_2)
	v_fma_f64 v[8:9], v[5:6], v[10:11], -v[8:9]
	v_fma_f64 v[16:17], v[14:15], v[16:17], s[34:35]
	s_mov_b32 s34, 0xcea8a32d
	s_mov_b32 s35, 0x3fa93e8a
	s_delay_alu instid0(VALU_DEP_2) | instid1(SALU_CYCLE_1)
	v_add_f64 v[8:9], v[8:9], s[34:35]
	s_mov_b32 s34, 0x7c89e6b0
	s_mov_b32 s35, 0x3efa0199
	s_delay_alu instid0(VALU_DEP_2) | instid1(SALU_CYCLE_1)
	v_fma_f64 v[16:17], v[14:15], v[16:17], s[34:35]
	s_mov_b32 s34, 0x14761f6e
	s_mov_b32 s35, 0x3f2a01a0
	s_delay_alu instid0(VALU_DEP_2) | instskip(NEXT) | instid1(VALU_DEP_2)
	v_fma_f64 v[10:11], v[5:6], v[8:9], -v[10:11]
	v_fma_f64 v[16:17], v[14:15], v[16:17], s[34:35]
	s_mov_b32 s34, 0x342d06ea
	s_mov_b32 s35, 0xbfb84b70
	s_delay_alu instid0(VALU_DEP_2) | instid1(SALU_CYCLE_1)
	v_add_f64 v[10:11], v[10:11], s[34:35]
	s_mov_b32 s34, 0x1852b7b0
	s_mov_b32 s35, 0x3f56c16c
	s_delay_alu instid0(VALU_DEP_2) | instid1(SALU_CYCLE_1)
	;; [unrolled: 13-line block ×4, first 2 shown]
	v_fma_f64 v[16:17], v[14:15], v[16:17], s[34:35]
	s_mov_b32 s34, 0x9035a22a
	s_mov_b32 s35, 0x3fe5a84e
	s_delay_alu instid0(VALU_DEP_2) | instskip(NEXT) | instid1(VALU_DEP_2)
	v_fma_f64 v[5:6], v[5:6], v[10:11], -v[8:9]
	v_fma_f64 v[10:11], v[14:15], v[16:17], 1.0
	s_delay_alu instid0(VALU_DEP_2) | instskip(NEXT) | instid1(VALU_DEP_2)
	v_add_f64 v[5:6], v[5:6], s[34:35]
	v_fma_f64 v[10:11], v[14:15], v[10:11], 1.0
	s_delay_alu instid0(VALU_DEP_2) | instskip(NEXT) | instid1(VALU_DEP_2)
	v_add_f64 v[5:6], v[5:6], -v[8:9]
	v_ldexp_f64 v[8:9], v[10:11], v12
	s_delay_alu instid0(VALU_DEP_2) | instskip(NEXT) | instid1(VALU_DEP_2)
	v_mul_f64 v[5:6], v[5:6], 0.5
	v_cndmask_b32_e32 v9, 0x7ff00000, v9, vcc_lo
	s_delay_alu instid0(VALU_DEP_3) | instskip(NEXT) | instid1(VALU_DEP_1)
	v_cndmask_b32_e32 v8, 0, v8, vcc_lo
	v_mul_f64 v[5:6], v[8:9], v[5:6]
.LBB7_129:
	s_and_not1_saveexec_b32 s31, s2
	s_cbranch_execz .LBB7_131
; %bb.130:
	v_div_scale_f64 v[5:6], null, v[1:2], v[1:2], 0x40400000
	v_div_scale_f64 v[12:13], vcc_lo, 0x40400000, v[1:2], 0x40400000
	s_mov_b32 s34, 0x66119130
	s_mov_b32 s35, 0xbc5646da
	;; [unrolled: 1-line block ×4, first 2 shown]
	v_cmp_nlt_f64_e64 s2, 0x40900000, v[1:2]
	s_delay_alu instid0(VALU_DEP_3) | instskip(SKIP_2) | instid1(VALU_DEP_1)
	v_rcp_f64_e32 v[8:9], v[5:6]
	s_waitcnt_depctr 0xfff
	v_fma_f64 v[10:11], -v[5:6], v[8:9], 1.0
	v_fma_f64 v[8:9], v[8:9], v[10:11], v[8:9]
	s_delay_alu instid0(VALU_DEP_1) | instskip(NEXT) | instid1(VALU_DEP_1)
	v_fma_f64 v[10:11], -v[5:6], v[8:9], 1.0
	v_fma_f64 v[8:9], v[8:9], v[10:11], v[8:9]
	s_delay_alu instid0(VALU_DEP_1) | instskip(NEXT) | instid1(VALU_DEP_1)
	v_mul_f64 v[10:11], v[12:13], v[8:9]
	v_fma_f64 v[5:6], -v[5:6], v[10:11], v[12:13]
	s_delay_alu instid0(VALU_DEP_1) | instskip(SKIP_1) | instid1(VALU_DEP_2)
	v_div_fmas_f64 v[5:6], v[5:6], v[8:9], v[10:11]
	v_cmp_gt_f64_e32 vcc_lo, 0x10000000, v[1:2]
	v_div_fixup_f64 v[5:6], v[5:6], v[1:2], 0x40400000
	v_cndmask_b32_e64 v18, 0, 1, vcc_lo
	s_delay_alu instid0(VALU_DEP_1) | instskip(NEXT) | instid1(VALU_DEP_1)
	v_lshlrev_b32_e32 v18, 8, v18
	v_ldexp_f64 v[18:19], v[1:2], v18
	s_delay_alu instid0(VALU_DEP_4) | instskip(NEXT) | instid1(VALU_DEP_2)
	v_add_f64 v[5:6], v[5:6], -2.0
	v_rsq_f64_e32 v[20:21], v[18:19]
	s_delay_alu instid0(VALU_DEP_1)
	v_fma_f64 v[8:9], v[5:6], s[36:37], s[34:35]
	s_mov_b32 s37, 0x3c60adb7
	s_mov_b32 s34, 0x12d98421
	;; [unrolled: 1-line block ×3, first 2 shown]
	s_waitcnt_depctr 0xfff
	v_mul_f64 v[22:23], v[18:19], v[20:21]
	v_mul_f64 v[20:21], v[20:21], 0.5
	v_fma_f64 v[10:11], v[5:6], v[8:9], s[36:37]
	s_mov_b32 s36, 0x6a5dcb37
	s_mov_b32 s37, 0x3e5ade15
	s_delay_alu instid0(VALU_DEP_2) | instskip(NEXT) | instid1(VALU_DEP_2)
	v_fma_f64 v[24:25], -v[20:21], v[22:23], 0.5
	v_add_f64 v[10:11], v[10:11], s[34:35]
	s_mov_b32 s34, 0x76041cd
	s_mov_b32 s35, 0x3c83f3dd
	s_delay_alu instid0(VALU_DEP_2) | instskip(SKIP_1) | instid1(VALU_DEP_3)
	v_fma_f64 v[22:23], v[22:23], v[24:25], v[22:23]
	v_fma_f64 v[20:21], v[20:21], v[24:25], v[20:21]
	v_fma_f64 v[8:9], v[5:6], v[10:11], -v[8:9]
	s_delay_alu instid0(VALU_DEP_3) | instskip(NEXT) | instid1(VALU_DEP_2)
	v_fma_f64 v[24:25], -v[22:23], v[22:23], v[18:19]
	v_add_f64 v[8:9], v[8:9], s[34:35]
	s_mov_b32 s34, 0xabd21fe4
	s_mov_b32 s35, 0xbcb4600b
	s_delay_alu instid0(VALU_DEP_1) | instskip(NEXT) | instid1(VALU_DEP_1)
	v_fma_f64 v[10:11], v[5:6], v[8:9], -v[10:11]
	v_add_f64 v[10:11], v[10:11], s[34:35]
	s_mov_b32 s34, 0xd908de38
	s_mov_b32 s35, 0xbcb8aee7
	s_delay_alu instid0(VALU_DEP_1) | instskip(NEXT) | instid1(VALU_DEP_1)
	v_fma_f64 v[8:9], v[5:6], v[10:11], -v[8:9]
	v_add_f64 v[8:9], v[8:9], s[34:35]
	s_mov_b32 s34, 0xa3eafb1f
	s_mov_b32 s35, 0x3cdfee7d
	s_delay_alu instid0(VALU_DEP_1) | instskip(NEXT) | instid1(VALU_DEP_1)
	v_fma_f64 v[10:11], v[5:6], v[8:9], -v[10:11]
	v_add_f64 v[10:11], v[10:11], s[34:35]
	s_mov_b32 s34, 0x9094e6d7
	s_mov_b32 s35, 0x3cf12a91
	s_delay_alu instid0(VALU_DEP_1) | instskip(NEXT) | instid1(VALU_DEP_1)
	v_fma_f64 v[8:9], v[5:6], v[10:11], -v[8:9]
	v_add_f64 v[8:9], v[8:9], s[34:35]
	s_mov_b32 s34, 0x7e65629a
	s_mov_b32 s35, 0xbd0583fe
	s_delay_alu instid0(VALU_DEP_1) | instskip(NEXT) | instid1(VALU_DEP_1)
	v_fma_f64 v[10:11], v[5:6], v[8:9], -v[10:11]
	v_add_f64 v[10:11], v[10:11], s[34:35]
	s_mov_b32 s34, 0xcf68bb32
	s_mov_b32 s35, 0xbd275d99
	s_delay_alu instid0(VALU_DEP_1) | instskip(NEXT) | instid1(VALU_DEP_1)
	v_fma_f64 v[8:9], v[5:6], v[10:11], -v[8:9]
	v_add_f64 v[8:9], v[8:9], s[34:35]
	s_mov_b32 s34, 0xd5fc545
	s_mov_b32 s35, 0x3d1156ff
	s_delay_alu instid0(VALU_DEP_1) | instskip(NEXT) | instid1(VALU_DEP_1)
	v_fma_f64 v[10:11], v[5:6], v[8:9], -v[10:11]
	v_add_f64 v[10:11], v[10:11], s[34:35]
	s_mov_b32 s34, 0x6b83c073
	s_mov_b32 s35, 0x3d5b1c8c
	s_delay_alu instid0(VALU_DEP_1) | instskip(NEXT) | instid1(VALU_DEP_1)
	v_fma_f64 v[8:9], v[5:6], v[10:11], -v[8:9]
	v_add_f64 v[8:9], v[8:9], s[34:35]
	s_mov_b32 s34, 0xfa268cec
	s_mov_b32 s35, 0x3d694347
	s_delay_alu instid0(VALU_DEP_1) | instskip(NEXT) | instid1(VALU_DEP_1)
	v_fma_f64 v[10:11], v[5:6], v[8:9], -v[10:11]
	v_add_f64 v[10:11], v[10:11], s[34:35]
	s_mov_b32 s34, 0x3178d66
	s_mov_b32 s35, 0xbd7f9043
	s_delay_alu instid0(VALU_DEP_1) | instskip(NEXT) | instid1(VALU_DEP_1)
	v_fma_f64 v[8:9], v[5:6], v[10:11], -v[8:9]
	v_add_f64 v[8:9], v[8:9], s[34:35]
	s_mov_b32 s34, 0x357e7bf2
	s_mov_b32 s35, 0xbdad0fd7
	s_delay_alu instid0(VALU_DEP_1) | instskip(NEXT) | instid1(VALU_DEP_1)
	v_fma_f64 v[10:11], v[5:6], v[8:9], -v[10:11]
	v_add_f64 v[10:11], v[10:11], s[34:35]
	s_mov_b32 s34, 0x8397425
	s_mov_b32 s35, 0xbdc1511d
	s_delay_alu instid0(VALU_DEP_1) | instskip(NEXT) | instid1(VALU_DEP_1)
	v_fma_f64 v[8:9], v[5:6], v[10:11], -v[8:9]
	v_add_f64 v[8:9], v[8:9], s[34:35]
	s_mov_b32 s34, 0xabe8004f
	s_mov_b32 s35, 0x3daa24fe
	s_delay_alu instid0(VALU_DEP_1) | instskip(NEXT) | instid1(VALU_DEP_1)
	v_fma_f64 v[10:11], v[5:6], v[8:9], -v[10:11]
	v_add_f64 v[10:11], v[10:11], s[34:35]
	s_mov_b32 s34, 0xc0f46f75
	s_mov_b32 s35, 0x3e00f9cc
	s_delay_alu instid0(VALU_DEP_1) | instskip(NEXT) | instid1(VALU_DEP_1)
	v_fma_f64 v[8:9], v[5:6], v[10:11], -v[8:9]
	v_add_f64 v[8:9], v[8:9], s[34:35]
	s_mov_b32 s34, 0x652b82fe
	s_mov_b32 s35, 0x3ff71547
	s_delay_alu instid0(SALU_CYCLE_1) | instskip(SKIP_2) | instid1(VALU_DEP_2)
	v_mul_f64 v[12:13], v[1:2], s[34:35]
	s_mov_b32 s34, 0xa9225b87
	s_mov_b32 s35, 0x3e2d2c64
	v_fma_f64 v[10:11], v[5:6], v[8:9], -v[10:11]
	s_delay_alu instid0(VALU_DEP_2) | instskip(NEXT) | instid1(VALU_DEP_2)
	v_rndne_f64_e32 v[12:13], v[12:13]
	v_add_f64 v[10:11], v[10:11], s[34:35]
	s_mov_b32 s34, 0xfefa39ef
	s_mov_b32 s35, 0xbfe62e42
	s_delay_alu instid0(VALU_DEP_2) | instid1(SALU_CYCLE_1)
	v_fma_f64 v[14:15], v[12:13], s[34:35], v[1:2]
	s_mov_b32 s34, 0x3b39803f
	s_mov_b32 s35, 0xbc7abc9e
	s_delay_alu instid0(VALU_DEP_2) | instskip(NEXT) | instid1(VALU_DEP_2)
	v_fma_f64 v[8:9], v[5:6], v[10:11], -v[8:9]
	v_fma_f64 v[14:15], v[12:13], s[34:35], v[14:15]
	s_mov_b32 s34, 0x80d6d56d
	s_mov_b32 s35, 0x3e585692
	s_delay_alu instid0(VALU_DEP_2) | instid1(SALU_CYCLE_1)
	v_add_f64 v[8:9], v[8:9], s[34:35]
	s_mov_b32 s34, 0xfca7ab0c
	s_mov_b32 s35, 0x3e928af3
	s_delay_alu instid0(VALU_DEP_2) | instid1(SALU_CYCLE_1)
	v_fma_f64 v[16:17], v[14:15], s[36:37], s[34:35]
	s_mov_b32 s34, 0x623fde64
	s_mov_b32 s35, 0x3ec71dee
	s_delay_alu instid0(VALU_DEP_2) | instskip(NEXT) | instid1(VALU_DEP_2)
	v_fma_f64 v[10:11], v[5:6], v[8:9], -v[10:11]
	v_fma_f64 v[16:17], v[14:15], v[16:17], s[34:35]
	s_mov_b32 s34, 0xd9cd616e
	s_mov_b32 s35, 0x3e8b8007
	s_delay_alu instid0(VALU_DEP_2) | instid1(SALU_CYCLE_1)
	;; [unrolled: 13-line block ×5, first 2 shown]
	v_add_f64 v[8:9], v[8:9], s[34:35]
	s_mov_b32 s34, 11
	s_mov_b32 s35, 0x3fe00000
	s_delay_alu instid0(VALU_DEP_2) | instid1(SALU_CYCLE_1)
	v_fma_f64 v[16:17], v[14:15], v[16:17], s[34:35]
	s_mov_b32 s34, 0xaca809cb
	s_mov_b32 s35, 0x3fe9be62
	s_delay_alu instid0(VALU_DEP_2) | instskip(SKIP_2) | instid1(VALU_DEP_4)
	v_fma_f64 v[5:6], v[5:6], v[8:9], -v[10:11]
	v_fma_f64 v[8:9], v[24:25], v[20:21], v[22:23]
	v_cvt_i32_f64_e32 v22, v[12:13]
	v_fma_f64 v[16:17], v[14:15], v[16:17], 1.0
	s_delay_alu instid0(VALU_DEP_4) | instskip(NEXT) | instid1(VALU_DEP_4)
	v_add_f64 v[5:6], v[5:6], s[34:35]
	v_fma_f64 v[12:13], -v[8:9], v[8:9], v[18:19]
	s_delay_alu instid0(VALU_DEP_3) | instskip(NEXT) | instid1(VALU_DEP_3)
	v_fma_f64 v[14:15], v[14:15], v[16:17], 1.0
	v_add_f64 v[5:6], v[5:6], -v[10:11]
	s_delay_alu instid0(VALU_DEP_3) | instskip(SKIP_4) | instid1(VALU_DEP_4)
	v_fma_f64 v[8:9], v[12:13], v[20:21], v[8:9]
	v_cndmask_b32_e64 v12, 0, 0xffffff80, vcc_lo
	v_cmp_class_f64_e64 vcc_lo, v[18:19], 0x260
	v_ldexp_f64 v[10:11], v[14:15], v22
	v_mul_f64 v[5:6], v[5:6], 0.5
	v_ldexp_f64 v[8:9], v[8:9], v12
	s_delay_alu instid0(VALU_DEP_3) | instskip(NEXT) | instid1(VALU_DEP_4)
	v_cndmask_b32_e64 v11, 0x7ff00000, v11, s2
	v_cndmask_b32_e64 v10, 0, v10, s2
	s_delay_alu instid0(VALU_DEP_1) | instskip(NEXT) | instid1(VALU_DEP_4)
	v_mul_f64 v[5:6], v[10:11], v[5:6]
	v_dual_cndmask_b32 v9, v9, v19 :: v_dual_cndmask_b32 v8, v8, v18
	s_delay_alu instid0(VALU_DEP_1) | instskip(NEXT) | instid1(VALU_DEP_1)
	v_div_scale_f64 v[10:11], null, v[8:9], v[8:9], v[5:6]
	v_rcp_f64_e32 v[12:13], v[10:11]
	s_waitcnt_depctr 0xfff
	v_fma_f64 v[14:15], -v[10:11], v[12:13], 1.0
	s_delay_alu instid0(VALU_DEP_1) | instskip(NEXT) | instid1(VALU_DEP_1)
	v_fma_f64 v[12:13], v[12:13], v[14:15], v[12:13]
	v_fma_f64 v[14:15], -v[10:11], v[12:13], 1.0
	s_delay_alu instid0(VALU_DEP_1) | instskip(SKIP_1) | instid1(VALU_DEP_1)
	v_fma_f64 v[12:13], v[12:13], v[14:15], v[12:13]
	v_div_scale_f64 v[14:15], vcc_lo, v[5:6], v[8:9], v[5:6]
	v_mul_f64 v[16:17], v[14:15], v[12:13]
	s_delay_alu instid0(VALU_DEP_1) | instskip(NEXT) | instid1(VALU_DEP_1)
	v_fma_f64 v[10:11], -v[10:11], v[16:17], v[14:15]
	v_div_fmas_f64 v[10:11], v[10:11], v[12:13], v[16:17]
	s_delay_alu instid0(VALU_DEP_1)
	v_div_fixup_f64 v[5:6], v[10:11], v[8:9], v[5:6]
.LBB7_131:
	s_or_b32 exec_lo, exec_lo, s31
	s_delay_alu instid0(VALU_DEP_2)
	v_frexp_mant_f64_e32 v[8:9], v[3:4]
	s_mov_b32 s35, 0x3fe55555
	s_mov_b32 s34, 0x55555555
	v_mov_b32_e32 v10, 0
	s_mov_b32 s36, 0x6b47b09a
	s_mov_b32 s38, 0xbf559e2b
	;; [unrolled: 1-line block ×4, first 2 shown]
	v_fma_f64 v[1:2], v[1:2], v[1:2], -2.0
	s_delay_alu instid0(VALU_DEP_3) | instskip(SKIP_2) | instid1(VALU_DEP_1)
	v_cmp_gt_f64_e32 vcc_lo, s[34:35], v[8:9]
	s_mov_b32 s34, 0x55555780
	v_cndmask_b32_e64 v11, 0x3ff00000, 2.0, vcc_lo
	v_mul_f64 v[8:9], v[8:9], v[10:11]
	s_delay_alu instid0(VALU_DEP_1) | instskip(SKIP_1) | instid1(VALU_DEP_2)
	v_add_f64 v[10:11], v[8:9], 1.0
	v_add_f64 v[16:17], v[8:9], -1.0
	v_rcp_f64_e32 v[12:13], v[10:11]
	v_add_f64 v[18:19], v[10:11], -1.0
	s_delay_alu instid0(VALU_DEP_1) | instskip(SKIP_2) | instid1(VALU_DEP_1)
	v_add_f64 v[8:9], v[8:9], -v[18:19]
	s_waitcnt_depctr 0xfff
	v_fma_f64 v[14:15], -v[10:11], v[12:13], 1.0
	v_fma_f64 v[12:13], v[14:15], v[12:13], v[12:13]
	s_delay_alu instid0(VALU_DEP_1) | instskip(NEXT) | instid1(VALU_DEP_1)
	v_fma_f64 v[14:15], -v[10:11], v[12:13], 1.0
	v_fma_f64 v[12:13], v[14:15], v[12:13], v[12:13]
	s_delay_alu instid0(VALU_DEP_1) | instskip(NEXT) | instid1(VALU_DEP_1)
	v_mul_f64 v[14:15], v[16:17], v[12:13]
	v_mul_f64 v[20:21], v[10:11], v[14:15]
	s_delay_alu instid0(VALU_DEP_1) | instskip(NEXT) | instid1(VALU_DEP_1)
	v_fma_f64 v[10:11], v[14:15], v[10:11], -v[20:21]
	v_fma_f64 v[8:9], v[14:15], v[8:9], v[10:11]
	s_delay_alu instid0(VALU_DEP_1) | instskip(NEXT) | instid1(VALU_DEP_1)
	v_add_f64 v[10:11], v[20:21], v[8:9]
	v_add_f64 v[18:19], v[16:17], -v[10:11]
	v_add_f64 v[20:21], v[10:11], -v[20:21]
	s_delay_alu instid0(VALU_DEP_2) | instskip(NEXT) | instid1(VALU_DEP_2)
	v_add_f64 v[16:17], v[16:17], -v[18:19]
	v_add_f64 v[8:9], v[20:21], -v[8:9]
	v_frexp_exp_i32_f64_e32 v20, v[3:4]
	s_delay_alu instid0(VALU_DEP_3) | instskip(NEXT) | instid1(VALU_DEP_1)
	v_add_f64 v[10:11], v[16:17], -v[10:11]
	v_add_f64 v[8:9], v[8:9], v[10:11]
	s_delay_alu instid0(VALU_DEP_1) | instskip(NEXT) | instid1(VALU_DEP_1)
	v_add_f64 v[8:9], v[18:19], v[8:9]
	v_mul_f64 v[8:9], v[12:13], v[8:9]
	s_delay_alu instid0(VALU_DEP_1) | instskip(NEXT) | instid1(VALU_DEP_1)
	v_add_f64 v[10:11], v[14:15], v[8:9]
	v_mul_f64 v[12:13], v[10:11], v[10:11]
	s_delay_alu instid0(VALU_DEP_1) | instskip(SKIP_3) | instid1(VALU_DEP_2)
	v_fma_f64 v[16:17], v[12:13], s[38:39], s[36:37]
	s_mov_b32 s36, 0xd7f4df2e
	s_mov_b32 s37, 0x3fc7474d
	v_mul_f64 v[18:19], v[10:11], v[12:13]
	v_fma_f64 v[16:17], v[12:13], v[16:17], s[36:37]
	s_mov_b32 s36, 0x16291751
	s_mov_b32 s37, 0x3fcc71c0
	s_delay_alu instid0(VALU_DEP_1) | instid1(SALU_CYCLE_1)
	v_fma_f64 v[16:17], v[12:13], v[16:17], s[36:37]
	s_mov_b32 s36, 0x9b27acf1
	s_mov_b32 s37, 0x3fd24924
	s_delay_alu instid0(VALU_DEP_1) | instid1(SALU_CYCLE_1)
	;; [unrolled: 4-line block ×3, first 2 shown]
	v_fma_f64 v[16:17], v[12:13], v[16:17], s[36:37]
	s_mov_b32 s37, 0x3ca3cee1
	s_mov_b32 s36, 0xe6a7fd77
	s_delay_alu instid0(VALU_DEP_1) | instskip(SKIP_4) | instid1(VALU_DEP_3)
	v_fma_f64 v[12:13], v[12:13], v[16:17], s[34:35]
	v_ldexp_f64 v[16:17], v[10:11], 1
	v_add_f64 v[10:11], v[10:11], -v[14:15]
	s_mov_b32 s34, 0xc384c2aa
	s_mov_b32 s35, 0x3d27fb0a
	v_mul_f64 v[12:13], v[18:19], v[12:13]
	v_subrev_co_ci_u32_e32 v18, vcc_lo, 0, v20, vcc_lo
	v_fma_f64 v[20:21], v[1:2], s[36:37], s[34:35]
	s_mov_b32 s34, 0xfefa39ef
	s_mov_b32 s35, 0x3fe62e42
	s_delay_alu instid0(VALU_DEP_2) | instskip(SKIP_4) | instid1(VALU_DEP_4)
	v_cvt_f64_i32_e32 v[18:19], v18
	v_add_f64 v[8:9], v[8:9], -v[10:11]
	s_mov_b32 s37, 0xbca3cee1
	v_cmp_eq_f64_e32 vcc_lo, 0x7ff00000, v[3:4]
	v_add_f64 v[14:15], v[16:17], v[12:13]
	v_mul_f64 v[22:23], v[18:19], s[34:35]
	s_delay_alu instid0(VALU_DEP_4) | instskip(NEXT) | instid1(VALU_DEP_3)
	v_ldexp_f64 v[8:9], v[8:9], 1
	v_add_f64 v[10:11], v[14:15], -v[16:17]
	v_fma_f64 v[16:17], v[1:2], v[20:21], s[36:37]
	s_delay_alu instid0(VALU_DEP_4) | instskip(SKIP_2) | instid1(VALU_DEP_3)
	v_fma_f64 v[24:25], v[18:19], s[34:35], -v[22:23]
	s_mov_b32 s34, 0x47512144
	s_mov_b32 s35, 0x3da6c25c
	v_add_f64 v[10:11], v[12:13], -v[10:11]
	s_delay_alu instid0(VALU_DEP_3)
	v_add_f64 v[12:13], v[16:17], s[34:35]
	s_mov_b32 s34, 0x3b39803f
	s_mov_b32 s35, 0x3c7abc9e
	s_delay_alu instid0(VALU_DEP_3) | instid1(SALU_CYCLE_1)
	v_fma_f64 v[16:17], v[18:19], s[34:35], v[24:25]
	s_mov_b32 s34, 0x67e58a13
	s_mov_b32 s35, 0x3e205c13
	s_delay_alu instid0(VALU_DEP_3) | instskip(NEXT) | instid1(VALU_DEP_3)
	v_add_f64 v[8:9], v[8:9], v[10:11]
	v_fma_f64 v[10:11], v[1:2], v[12:13], -v[20:21]
	s_delay_alu instid0(VALU_DEP_3) | instskip(NEXT) | instid1(VALU_DEP_3)
	v_add_f64 v[18:19], v[22:23], v[16:17]
	v_add_f64 v[20:21], v[14:15], v[8:9]
	s_delay_alu instid0(VALU_DEP_3) | instskip(SKIP_2) | instid1(VALU_DEP_3)
	v_add_f64 v[10:11], v[10:11], s[34:35]
	s_mov_b32 s34, 0xe7f95efc
	s_mov_b32 s35, 0x3e9102bc
	v_add_f64 v[22:23], v[18:19], -v[22:23]
	s_delay_alu instid0(VALU_DEP_3) | instskip(NEXT) | instid1(VALU_DEP_3)
	v_add_f64 v[24:25], v[18:19], v[20:21]
	v_fma_f64 v[12:13], v[1:2], v[10:11], -v[12:13]
	v_add_f64 v[14:15], v[20:21], -v[14:15]
	s_delay_alu instid0(VALU_DEP_4) | instskip(NEXT) | instid1(VALU_DEP_4)
	v_add_f64 v[16:17], v[16:17], -v[22:23]
	v_add_f64 v[26:27], v[24:25], -v[18:19]
	s_delay_alu instid0(VALU_DEP_4) | instskip(NEXT) | instid1(VALU_DEP_4)
	v_add_f64 v[12:13], v[12:13], s[34:35]
	v_add_f64 v[8:9], v[8:9], -v[14:15]
	s_mov_b32 s34, 0xfe8cfca0
	s_mov_b32 s35, 0x3ef7f900
	s_delay_alu instid0(VALU_DEP_3) | instskip(NEXT) | instid1(VALU_DEP_3)
	v_add_f64 v[28:29], v[24:25], -v[26:27]
	v_fma_f64 v[10:11], v[1:2], v[12:13], -v[10:11]
	v_add_f64 v[14:15], v[20:21], -v[26:27]
	s_delay_alu instid0(VALU_DEP_4) | instskip(NEXT) | instid1(VALU_DEP_4)
	v_add_f64 v[20:21], v[16:17], v[8:9]
	v_add_f64 v[18:19], v[18:19], -v[28:29]
	s_delay_alu instid0(VALU_DEP_4) | instskip(SKIP_2) | instid1(VALU_DEP_2)
	v_add_f64 v[10:11], v[10:11], s[34:35]
	s_mov_b32 s34, 0x75633d73
	s_mov_b32 s35, 0x3f54b82e
	v_add_f64 v[14:15], v[14:15], v[18:19]
	s_delay_alu instid0(VALU_DEP_2) | instskip(SKIP_1) | instid1(VALU_DEP_3)
	v_fma_f64 v[12:13], v[1:2], v[10:11], -v[12:13]
	v_add_f64 v[18:19], v[20:21], -v[16:17]
	v_add_f64 v[14:15], v[20:21], v[14:15]
	s_delay_alu instid0(VALU_DEP_3) | instskip(NEXT) | instid1(VALU_DEP_3)
	v_add_f64 v[12:13], v[12:13], s[34:35]
	v_add_f64 v[20:21], v[20:21], -v[18:19]
	v_add_f64 v[8:9], v[8:9], -v[18:19]
	s_mov_b32 s34, 0x554a9085
	s_mov_b32 s35, 0x3fa26bf6
	s_delay_alu instid0(VALU_DEP_4) | instskip(NEXT) | instid1(VALU_DEP_4)
	v_add_f64 v[22:23], v[24:25], v[14:15]
	v_fma_f64 v[10:11], v[1:2], v[12:13], -v[10:11]
	s_delay_alu instid0(VALU_DEP_4) | instskip(NEXT) | instid1(VALU_DEP_3)
	v_add_f64 v[16:17], v[16:17], -v[20:21]
	v_add_f64 v[18:19], v[22:23], -v[24:25]
	s_delay_alu instid0(VALU_DEP_3) | instskip(NEXT) | instid1(VALU_DEP_3)
	v_add_f64 v[10:11], v[10:11], s[34:35]
	v_add_f64 v[8:9], v[8:9], v[16:17]
	s_mov_b32 s34, 0x81213db9
	s_mov_b32 s35, 0x3fd608d8
	s_delay_alu instid0(VALU_DEP_3) | instskip(NEXT) | instid1(VALU_DEP_3)
	v_add_f64 v[14:15], v[14:15], -v[18:19]
	v_fma_f64 v[12:13], v[1:2], v[10:11], -v[12:13]
	s_delay_alu instid0(VALU_DEP_2) | instskip(NEXT) | instid1(VALU_DEP_2)
	v_add_f64 v[8:9], v[8:9], v[14:15]
	v_add_f64 v[12:13], v[12:13], s[34:35]
	s_mov_b32 s34, 0xe9d2f61f
	s_mov_b32 s35, 0xbfe12166
	s_delay_alu instid0(VALU_DEP_2) | instskip(NEXT) | instid1(VALU_DEP_2)
	v_add_f64 v[8:9], v[22:23], v[8:9]
	v_fma_f64 v[1:2], v[1:2], v[12:13], -v[10:11]
	s_delay_alu instid0(VALU_DEP_2) | instskip(SKIP_1) | instid1(VALU_DEP_3)
	v_dual_cndmask_b32 v9, v9, v4 :: v_dual_cndmask_b32 v8, v8, v3
	v_cmp_neq_f64_e32 vcc_lo, 0, v[3:4]
	v_add_f64 v[1:2], v[1:2], s[34:35]
	s_delay_alu instid0(VALU_DEP_3) | instskip(NEXT) | instid1(VALU_DEP_4)
	v_cndmask_b32_e32 v4, 0xfff00000, v9, vcc_lo
	v_cndmask_b32_e32 v3, 0, v8, vcc_lo
	s_delay_alu instid0(VALU_DEP_3) | instskip(NEXT) | instid1(VALU_DEP_2)
	v_add_f64 v[1:2], v[1:2], -v[10:11]
	v_mul_f64 v[3:4], v[3:4], v[5:6]
	s_delay_alu instid0(VALU_DEP_1)
	v_fma_f64 v[3:4], v[1:2], 0.5, -v[3:4]
                                        ; implicit-def: $vgpr1_vgpr2
.LBB7_132:
	s_and_not1_saveexec_b32 s21, s21
	s_cbranch_execz .LBB7_134
; %bb.133:
	v_div_scale_f64 v[3:4], null, v[1:2], v[1:2], 0x40200000
	v_div_scale_f64 v[10:11], vcc_lo, 0x40200000, v[1:2], 0x40200000
	s_mov_b32 s34, 0x93812603
	s_mov_b32 s35, 0xbc72fecc
	;; [unrolled: 1-line block ×4, first 2 shown]
	v_cmp_nlt_f64_e64 s2, 0x4090cc00, v[1:2]
	s_delay_alu instid0(VALU_DEP_3) | instskip(SKIP_2) | instid1(VALU_DEP_1)
	v_rcp_f64_e32 v[5:6], v[3:4]
	s_waitcnt_depctr 0xfff
	v_fma_f64 v[8:9], -v[3:4], v[5:6], 1.0
	v_fma_f64 v[5:6], v[5:6], v[8:9], v[5:6]
	s_delay_alu instid0(VALU_DEP_1) | instskip(NEXT) | instid1(VALU_DEP_1)
	v_fma_f64 v[8:9], -v[3:4], v[5:6], 1.0
	v_fma_f64 v[5:6], v[5:6], v[8:9], v[5:6]
	s_delay_alu instid0(VALU_DEP_1) | instskip(NEXT) | instid1(VALU_DEP_1)
	v_mul_f64 v[8:9], v[10:11], v[5:6]
	v_fma_f64 v[3:4], -v[3:4], v[8:9], v[10:11]
	s_delay_alu instid0(VALU_DEP_1) | instskip(SKIP_1) | instid1(VALU_DEP_2)
	v_div_fmas_f64 v[3:4], v[3:4], v[5:6], v[8:9]
	v_cmp_gt_f64_e32 vcc_lo, 0x10000000, v[1:2]
	v_div_fixup_f64 v[3:4], v[3:4], v[1:2], 0x40200000
	v_cndmask_b32_e64 v16, 0, 1, vcc_lo
	s_delay_alu instid0(VALU_DEP_1) | instskip(NEXT) | instid1(VALU_DEP_1)
	v_lshlrev_b32_e32 v16, 8, v16
	v_ldexp_f64 v[16:17], v[1:2], v16
	s_delay_alu instid0(VALU_DEP_4) | instskip(NEXT) | instid1(VALU_DEP_2)
	v_add_f64 v[3:4], v[3:4], -2.0
	v_rsq_f64_e32 v[18:19], v[16:17]
	s_delay_alu instid0(VALU_DEP_1)
	v_fma_f64 v[5:6], v[3:4], s[36:37], s[34:35]
	s_mov_b32 s37, 0xbc5871a5
	s_mov_b32 s34, 0x41a8cdf4
	;; [unrolled: 1-line block ×3, first 2 shown]
	s_waitcnt_depctr 0xfff
	v_mul_f64 v[20:21], v[16:17], v[18:19]
	v_mul_f64 v[18:19], v[18:19], 0.5
	v_fma_f64 v[8:9], v[3:4], v[5:6], s[36:37]
	s_mov_b32 s36, 0x6a5dcb37
	s_mov_b32 s37, 0x3e5ade15
	s_delay_alu instid0(VALU_DEP_2) | instskip(NEXT) | instid1(VALU_DEP_2)
	v_fma_f64 v[22:23], -v[18:19], v[20:21], 0.5
	v_add_f64 v[8:9], v[8:9], s[34:35]
	s_mov_b32 s34, 0x74d77641
	s_mov_b32 s35, 0xbca82f94
	s_delay_alu instid0(VALU_DEP_2) | instskip(SKIP_1) | instid1(VALU_DEP_3)
	v_fma_f64 v[20:21], v[20:21], v[22:23], v[20:21]
	v_fma_f64 v[18:19], v[18:19], v[22:23], v[18:19]
	v_fma_f64 v[5:6], v[3:4], v[8:9], -v[5:6]
	s_delay_alu instid0(VALU_DEP_3) | instskip(NEXT) | instid1(VALU_DEP_2)
	v_fma_f64 v[22:23], -v[20:21], v[20:21], v[16:17]
	v_add_f64 v[5:6], v[5:6], s[34:35]
	s_mov_b32 s34, 0x6b94785b
	s_mov_b32 s35, 0x3cc3dbf9
	s_delay_alu instid0(VALU_DEP_1) | instskip(NEXT) | instid1(VALU_DEP_1)
	v_fma_f64 v[8:9], v[3:4], v[5:6], -v[8:9]
	v_add_f64 v[8:9], v[8:9], s[34:35]
	s_mov_b32 s34, 0xecfadd36
	s_mov_b32 s35, 0xbce0a690
	s_delay_alu instid0(VALU_DEP_1) | instskip(NEXT) | instid1(VALU_DEP_1)
	v_fma_f64 v[5:6], v[3:4], v[8:9], -v[5:6]
	;; [unrolled: 5-line block ×14, first 2 shown]
	v_add_f64 v[5:6], v[5:6], s[34:35]
	s_mov_b32 s34, 0x652b82fe
	s_mov_b32 s35, 0xbff71547
	s_delay_alu instid0(SALU_CYCLE_1) | instskip(SKIP_2) | instid1(VALU_DEP_2)
	v_mul_f64 v[10:11], v[1:2], s[34:35]
	s_mov_b32 s34, 0x81e3e46f
	s_mov_b32 s35, 0x3e929159
	v_fma_f64 v[8:9], v[3:4], v[5:6], -v[8:9]
	s_delay_alu instid0(VALU_DEP_2) | instskip(NEXT) | instid1(VALU_DEP_2)
	v_rndne_f64_e32 v[10:11], v[10:11]
	v_add_f64 v[8:9], v[8:9], s[34:35]
	s_mov_b32 s34, 0xfefa39ef
	s_mov_b32 s35, 0xbfe62e42
	s_delay_alu instid0(VALU_DEP_2) | instid1(SALU_CYCLE_1)
	v_fma_f64 v[12:13], v[10:11], s[34:35], -v[1:2]
	s_mov_b32 s34, 0x3b39803f
	s_mov_b32 s35, 0xbc7abc9e
	s_delay_alu instid0(VALU_DEP_2) | instskip(NEXT) | instid1(VALU_DEP_2)
	v_fma_f64 v[5:6], v[3:4], v[8:9], -v[5:6]
	v_fma_f64 v[12:13], v[10:11], s[34:35], v[12:13]
	s_mov_b32 s34, 0x7f18d3a9
	s_mov_b32 s35, 0xbebebb54
	s_delay_alu instid0(VALU_DEP_2) | instid1(SALU_CYCLE_1)
	v_add_f64 v[5:6], v[5:6], s[34:35]
	s_mov_b32 s34, 0xfca7ab0c
	s_mov_b32 s35, 0x3e928af3
	s_delay_alu instid0(VALU_DEP_2) | instid1(SALU_CYCLE_1)
	v_fma_f64 v[14:15], v[12:13], s[36:37], s[34:35]
	s_mov_b32 s34, 0x623fde64
	s_mov_b32 s35, 0x3ec71dee
	s_delay_alu instid0(VALU_DEP_2) | instskip(NEXT) | instid1(VALU_DEP_2)
	v_fma_f64 v[8:9], v[3:4], v[5:6], -v[8:9]
	v_fma_f64 v[14:15], v[12:13], v[14:15], s[34:35]
	s_mov_b32 s34, 0xcc7470a9
	s_mov_b32 s35, 0x3eed413f
	s_delay_alu instid0(VALU_DEP_2) | instid1(SALU_CYCLE_1)
	v_add_f64 v[8:9], v[8:9], s[34:35]
	s_mov_b32 s34, 0x7c89e6b0
	s_mov_b32 s35, 0x3efa0199
	s_delay_alu instid0(VALU_DEP_2) | instid1(SALU_CYCLE_1)
	v_fma_f64 v[14:15], v[12:13], v[14:15], s[34:35]
	;; [unrolled: 13-line block ×5, first 2 shown]
	s_mov_b32 s34, 0x9f4e6907
	s_mov_b32 s35, 0x400385bd
	s_delay_alu instid0(VALU_DEP_2) | instskip(SKIP_2) | instid1(VALU_DEP_4)
	v_fma_f64 v[3:4], v[3:4], v[5:6], -v[8:9]
	v_fma_f64 v[5:6], v[22:23], v[18:19], v[20:21]
	v_cvt_i32_f64_e32 v20, v[10:11]
	v_fma_f64 v[14:15], v[12:13], v[14:15], 1.0
	s_delay_alu instid0(VALU_DEP_4) | instskip(NEXT) | instid1(VALU_DEP_4)
	v_add_f64 v[3:4], v[3:4], s[34:35]
	v_fma_f64 v[10:11], -v[5:6], v[5:6], v[16:17]
	s_delay_alu instid0(VALU_DEP_3) | instskip(NEXT) | instid1(VALU_DEP_3)
	v_fma_f64 v[12:13], v[12:13], v[14:15], 1.0
	v_add_f64 v[3:4], v[3:4], -v[8:9]
	s_delay_alu instid0(VALU_DEP_3) | instskip(NEXT) | instid1(VALU_DEP_3)
	v_fma_f64 v[5:6], v[10:11], v[18:19], v[5:6]
	v_ldexp_f64 v[8:9], v[12:13], v20
	s_delay_alu instid0(VALU_DEP_3) | instskip(SKIP_2) | instid1(VALU_DEP_2)
	v_mul_f64 v[1:2], v[3:4], 0.5
	v_cndmask_b32_e64 v3, 0, 0xffffff80, vcc_lo
	v_cmp_class_f64_e64 vcc_lo, v[16:17], 0x260
	v_ldexp_f64 v[3:4], v[5:6], v3
	v_cndmask_b32_e64 v6, 0, v9, s2
	v_cndmask_b32_e64 v5, 0, v8, s2
	s_delay_alu instid0(VALU_DEP_1) | instskip(NEXT) | instid1(VALU_DEP_4)
	v_mul_f64 v[1:2], v[5:6], v[1:2]
	v_dual_cndmask_b32 v4, v4, v17 :: v_dual_cndmask_b32 v3, v3, v16
	s_delay_alu instid0(VALU_DEP_1) | instskip(NEXT) | instid1(VALU_DEP_1)
	v_div_scale_f64 v[5:6], null, v[3:4], v[3:4], v[1:2]
	v_rcp_f64_e32 v[8:9], v[5:6]
	s_waitcnt_depctr 0xfff
	v_fma_f64 v[10:11], -v[5:6], v[8:9], 1.0
	s_delay_alu instid0(VALU_DEP_1) | instskip(NEXT) | instid1(VALU_DEP_1)
	v_fma_f64 v[8:9], v[8:9], v[10:11], v[8:9]
	v_fma_f64 v[10:11], -v[5:6], v[8:9], 1.0
	s_delay_alu instid0(VALU_DEP_1) | instskip(SKIP_1) | instid1(VALU_DEP_1)
	v_fma_f64 v[8:9], v[8:9], v[10:11], v[8:9]
	v_div_scale_f64 v[10:11], vcc_lo, v[1:2], v[3:4], v[1:2]
	v_mul_f64 v[12:13], v[10:11], v[8:9]
	s_delay_alu instid0(VALU_DEP_1) | instskip(NEXT) | instid1(VALU_DEP_1)
	v_fma_f64 v[5:6], -v[5:6], v[12:13], v[10:11]
	v_div_fmas_f64 v[5:6], v[5:6], v[8:9], v[12:13]
	s_delay_alu instid0(VALU_DEP_1)
	v_div_fixup_f64 v[3:4], v[5:6], v[3:4], v[1:2]
.LBB7_134:
	s_or_b32 exec_lo, exec_lo, s21
.LBB7_135:
	s_delay_alu instid0(SALU_CYCLE_1)
	s_or_b32 exec_lo, exec_lo, s20
.LBB7_136:
	s_delay_alu instid0(SALU_CYCLE_1) | instskip(SKIP_3) | instid1(SALU_CYCLE_1)
	s_or_b32 exec_lo, exec_lo, s3
	v_add_nc_u32_e32 v7, 0x80, v7
	global_store_b64 v0, v[3:4], s[4:5]
	s_or_b32 exec_lo, exec_lo, s30
	s_mov_b32 s30, exec_lo
	v_cmpx_gt_i32_e64 s27, v7
	s_cbranch_execnz .LBB7_15
.LBB7_137:
	s_or_b32 exec_lo, exec_lo, s30
	s_delay_alu instid0(SALU_CYCLE_1)
	s_mov_b32 s30, exec_lo
	v_cmpx_gt_i32_e64 s27, v7
	s_cbranch_execz .LBB7_164
.LBB7_138:
	s_and_not1_b32 vcc_lo, exec_lo, s24
	s_cbranch_vccnz .LBB7_143
; %bb.139:
	v_dual_mov_b32 v0, 0 :: v_dual_mov_b32 v1, 0
	s_and_not1_b32 vcc_lo, exec_lo, s29
	s_mov_b32 s31, 0
	s_cbranch_vccnz .LBB7_171
; %bb.140:
	v_mov_b32_e32 v0, 0
	s_add_i32 s34, s28, 1
	s_cmp_eq_u32 s23, 2
	s_mov_b32 s33, 0
	s_cbranch_scc1 .LBB7_167
; %bb.141:
	v_dual_mov_b32 v1, 0 :: v_dual_mov_b32 v0, 0
	v_mov_b32_e32 v2, v7
	s_and_b32 s33, s34, 28
	s_mov_b32 s35, 0
	s_mov_b64 s[2:3], s[18:19]
	s_mov_b64 s[20:21], s[0:1]
.LBB7_142:                              ; =>This Inner Loop Header: Depth=1
	s_clause 0x1
	s_load_b256 s[36:43], s[20:21], 0x4
	s_load_b128 s[52:55], s[20:21], 0x24
	s_load_b256 s[44:51], s[2:3], 0x0
	s_add_u32 s20, s20, 48
	s_addc_u32 s21, s21, 0
	s_add_i32 s35, s35, 4
	s_add_u32 s2, s2, 32
	s_addc_u32 s3, s3, 0
	s_cmp_eq_u32 s33, s35
	s_waitcnt lgkmcnt(0)
	v_mul_hi_u32 v3, s37, v2
	s_delay_alu instid0(VALU_DEP_1) | instskip(NEXT) | instid1(VALU_DEP_1)
	v_add_nc_u32_e32 v3, v2, v3
	v_lshrrev_b32_e32 v3, s38, v3
	s_delay_alu instid0(VALU_DEP_1) | instskip(SKIP_1) | instid1(VALU_DEP_2)
	v_mul_hi_u32 v4, s40, v3
	v_mul_lo_u32 v6, v3, s36
	v_add_nc_u32_e32 v4, v3, v4
	s_delay_alu instid0(VALU_DEP_2) | instskip(NEXT) | instid1(VALU_DEP_2)
	v_sub_nc_u32_e32 v2, v2, v6
	v_lshrrev_b32_e32 v4, s41, v4
	s_delay_alu instid0(VALU_DEP_2) | instskip(SKIP_1) | instid1(VALU_DEP_3)
	v_mul_lo_u32 v6, v2, s44
	v_mul_lo_u32 v9, v2, s45
	v_mul_hi_u32 v5, s43, v4
	s_delay_alu instid0(VALU_DEP_1) | instskip(NEXT) | instid1(VALU_DEP_1)
	v_add_nc_u32_e32 v5, v4, v5
	v_lshrrev_b32_e32 v5, s52, v5
	s_delay_alu instid0(VALU_DEP_1) | instskip(SKIP_1) | instid1(VALU_DEP_2)
	v_mul_hi_u32 v8, s54, v5
	v_mul_lo_u32 v10, v5, s42
	v_add_nc_u32_e32 v2, v5, v8
	v_mul_lo_u32 v8, v4, s39
	s_delay_alu instid0(VALU_DEP_3) | instskip(NEXT) | instid1(VALU_DEP_3)
	v_sub_nc_u32_e32 v4, v4, v10
	v_lshrrev_b32_e32 v2, s55, v2
	s_delay_alu instid0(VALU_DEP_2) | instskip(SKIP_2) | instid1(VALU_DEP_4)
	v_mul_lo_u32 v10, v4, s48
	v_mul_lo_u32 v4, v4, s49
	v_sub_nc_u32_e32 v3, v3, v8
	v_mul_lo_u32 v11, v2, s53
	s_delay_alu instid0(VALU_DEP_2) | instskip(SKIP_1) | instid1(VALU_DEP_3)
	v_mul_lo_u32 v8, v3, s46
	v_mul_lo_u32 v3, v3, s47
	v_sub_nc_u32_e32 v5, v5, v11
	s_delay_alu instid0(VALU_DEP_3) | instskip(NEXT) | instid1(VALU_DEP_2)
	v_add3_u32 v0, v6, v0, v8
	v_mul_lo_u32 v11, v5, s50
	v_mul_lo_u32 v5, v5, s51
	v_add3_u32 v1, v9, v1, v3
	s_delay_alu instid0(VALU_DEP_3) | instskip(NEXT) | instid1(VALU_DEP_2)
	v_add3_u32 v0, v10, v0, v11
	v_add3_u32 v1, v4, v1, v5
	s_cbranch_scc0 .LBB7_142
	s_branch .LBB7_168
.LBB7_143:
	s_mov_b32 s31, -1
                                        ; implicit-def: $vgpr0
                                        ; implicit-def: $vgpr1
	s_branch .LBB7_171
.LBB7_144:
	v_dual_mov_b32 v2, v7 :: v_dual_mov_b32 v1, 0
.LBB7_145:
	s_and_b32 s34, s34, 3
	s_delay_alu instid0(SALU_CYCLE_1)
	s_cmp_eq_u32 s34, 0
	s_cbranch_scc1 .LBB7_148
; %bb.146:
	s_lshl_b32 s2, s33, 3
	s_mul_i32 s20, s33, 12
	s_add_u32 s2, s2, s0
	s_addc_u32 s3, s1, 0
	s_add_u32 s2, s2, 0xc4
	s_addc_u32 s3, s3, 0
	s_add_u32 s20, s0, s20
	s_addc_u32 s21, s1, 0
	.p2align	6
.LBB7_147:                              ; =>This Inner Loop Header: Depth=1
	s_clause 0x1
	s_load_b64 s[36:37], s[20:21], 0x4
	s_load_b32 s33, s[20:21], 0xc
	s_load_b64 s[38:39], s[2:3], 0x0
	s_add_u32 s20, s20, 12
	s_addc_u32 s21, s21, 0
	s_add_u32 s2, s2, 8
	s_addc_u32 s3, s3, 0
	s_add_i32 s34, s34, -1
	s_delay_alu instid0(SALU_CYCLE_1) | instskip(SKIP_2) | instid1(VALU_DEP_1)
	s_cmp_lg_u32 s34, 0
	s_waitcnt lgkmcnt(0)
	v_mul_hi_u32 v3, s37, v2
	v_add_nc_u32_e32 v3, v2, v3
	s_delay_alu instid0(VALU_DEP_1) | instskip(NEXT) | instid1(VALU_DEP_1)
	v_lshrrev_b32_e32 v6, s33, v3
	v_mul_lo_u32 v3, v6, s36
	s_delay_alu instid0(VALU_DEP_1) | instskip(NEXT) | instid1(VALU_DEP_1)
	v_sub_nc_u32_e32 v2, v2, v3
	v_mad_u64_u32 v[3:4], null, v2, s38, v[0:1]
	v_mad_u64_u32 v[4:5], null, v2, s39, v[1:2]
	v_mov_b32_e32 v2, v6
	s_delay_alu instid0(VALU_DEP_2)
	v_dual_mov_b32 v0, v3 :: v_dual_mov_b32 v1, v4
	s_cbranch_scc1 .LBB7_147
.LBB7_148:
	s_and_not1_b32 vcc_lo, exec_lo, s31
	s_cbranch_vccnz .LBB7_151
; %bb.149:
	s_waitcnt lgkmcnt(0)
	v_mul_hi_u32 v0, s13, v7
	s_and_not1_b32 vcc_lo, exec_lo, s26
	s_delay_alu instid0(VALU_DEP_1) | instskip(NEXT) | instid1(VALU_DEP_1)
	v_add_nc_u32_e32 v0, v7, v0
	v_lshrrev_b32_e32 v2, s14, v0
	s_delay_alu instid0(VALU_DEP_1) | instskip(NEXT) | instid1(VALU_DEP_1)
	v_mul_lo_u32 v0, v2, s12
	v_sub_nc_u32_e32 v1, v7, v0
	s_delay_alu instid0(VALU_DEP_1)
	v_mul_lo_u32 v0, v1, s8
	v_mul_lo_u32 v1, v1, s9
	s_cbranch_vccnz .LBB7_151
; %bb.150:
	v_mul_hi_u32 v3, s16, v2
	s_delay_alu instid0(VALU_DEP_1) | instskip(NEXT) | instid1(VALU_DEP_1)
	v_add_nc_u32_e32 v3, v2, v3
	v_lshrrev_b32_e32 v3, s17, v3
	s_delay_alu instid0(VALU_DEP_1) | instskip(NEXT) | instid1(VALU_DEP_1)
	v_mul_lo_u32 v3, v3, s15
	v_sub_nc_u32_e32 v5, v2, v3
	s_delay_alu instid0(VALU_DEP_1) | instskip(NEXT) | instid1(VALU_DEP_1)
	v_mad_u64_u32 v[2:3], null, v5, s10, v[0:1]
	v_mad_u64_u32 v[3:4], null, v5, s11, v[1:2]
	s_delay_alu instid0(VALU_DEP_1)
	v_dual_mov_b32 v0, v2 :: v_dual_mov_b32 v1, v3
.LBB7_151:
	s_waitcnt lgkmcnt(0)
	global_load_b64 v[1:2], v1, s[6:7]
	v_mov_b32_e32 v3, 0
	v_mov_b32_e32 v4, 0x7ff00000
	s_mov_b32 s3, exec_lo
	s_waitcnt vmcnt(0)
	v_cmpx_neq_f64_e32 0, v[1:2]
	s_cbranch_execz .LBB7_163
; %bb.152:
	v_mov_b32_e32 v3, 0
	v_mov_b32_e32 v4, 0x7ff80000
	s_mov_b32 s20, exec_lo
	v_cmpx_ngt_f64_e32 0, v[1:2]
	s_cbranch_execz .LBB7_162
; %bb.153:
                                        ; implicit-def: $vgpr3_vgpr4
	s_mov_b32 s2, exec_lo
	v_cmpx_ge_f64_e32 2.0, v[1:2]
	s_xor_b32 s21, exec_lo, s2
	s_cbranch_execz .LBB7_159
; %bb.154:
	v_mul_f64 v[3:4], v[1:2], 0.5
	s_mov_b32 s2, exec_lo
                                        ; implicit-def: $vgpr5_vgpr6
	v_cmpx_ge_f64_e32 0x40200000, v[1:2]
	s_xor_b32 s2, exec_lo, s2
	s_cbranch_execz .LBB7_156
; %bb.155:
	s_delay_alu instid0(VALU_DEP_2)
	v_add_f64 v[5:6], v[3:4], -2.0
	s_mov_b32 s34, 0x977da589
	s_mov_b32 s35, 0x3c833362
	;; [unrolled: 1-line block ×4, first 2 shown]
	v_cmp_nlt_f64_e32 vcc_lo, 0x40900000, v[1:2]
	s_delay_alu instid0(VALU_DEP_2) | instskip(SKIP_3) | instid1(VALU_DEP_1)
	v_fma_f64 v[8:9], v[5:6], s[36:37], s[34:35]
	s_mov_b32 s37, 0x3c545cb7
	s_mov_b32 s34, 0x721ebbb4
	;; [unrolled: 1-line block ×3, first 2 shown]
	v_fma_f64 v[10:11], v[5:6], v[8:9], s[36:37]
	s_mov_b32 s36, 0x6a5dcb37
	s_mov_b32 s37, 0x3e5ade15
	s_delay_alu instid0(VALU_DEP_1) | instskip(SKIP_2) | instid1(VALU_DEP_1)
	v_add_f64 v[10:11], v[10:11], s[34:35]
	s_mov_b32 s34, 0x93f65eba
	s_mov_b32 s35, 0x3cdee6d8
	v_fma_f64 v[8:9], v[5:6], v[10:11], -v[8:9]
	s_delay_alu instid0(VALU_DEP_1) | instskip(SKIP_2) | instid1(VALU_DEP_1)
	v_add_f64 v[8:9], v[8:9], s[34:35]
	s_mov_b32 s34, 0xc297fbeb
	s_mov_b32 s35, 0xbd0a5022
	v_fma_f64 v[10:11], v[5:6], v[8:9], -v[10:11]
	;; [unrolled: 5-line block ×20, first 2 shown]
	s_delay_alu instid0(VALU_DEP_1) | instskip(SKIP_2) | instid1(SALU_CYCLE_1)
	v_add_f64 v[10:11], v[10:11], s[34:35]
	s_mov_b32 s34, 0x652b82fe
	s_mov_b32 s35, 0x3ff71547
	v_mul_f64 v[12:13], v[1:2], s[34:35]
	s_mov_b32 s34, 0xf3dde3dd
	s_mov_b32 s35, 0x3f859961
	s_delay_alu instid0(VALU_DEP_2) | instskip(NEXT) | instid1(VALU_DEP_2)
	v_fma_f64 v[8:9], v[5:6], v[10:11], -v[8:9]
	v_rndne_f64_e32 v[12:13], v[12:13]
	s_delay_alu instid0(VALU_DEP_2)
	v_add_f64 v[8:9], v[8:9], s[34:35]
	s_mov_b32 s34, 0xfefa39ef
	s_mov_b32 s35, 0xbfe62e42
	s_delay_alu instid0(VALU_DEP_2) | instid1(SALU_CYCLE_1)
	v_fma_f64 v[14:15], v[12:13], s[34:35], v[1:2]
	s_mov_b32 s34, 0x3b39803f
	s_mov_b32 s35, 0xbc7abc9e
	s_delay_alu instid0(VALU_DEP_2) | instskip(NEXT) | instid1(VALU_DEP_2)
	v_fma_f64 v[10:11], v[5:6], v[8:9], -v[10:11]
	v_fma_f64 v[14:15], v[12:13], s[34:35], v[14:15]
	s_mov_b32 s34, 0xf121b6f0
	s_mov_b32 s35, 0xbf984e9e
	v_cvt_i32_f64_e32 v12, v[12:13]
	s_delay_alu instid0(VALU_DEP_3)
	v_add_f64 v[10:11], v[10:11], s[34:35]
	s_mov_b32 s34, 0xfca7ab0c
	s_mov_b32 s35, 0x3e928af3
	s_delay_alu instid0(VALU_DEP_3) | instid1(SALU_CYCLE_1)
	v_fma_f64 v[16:17], v[14:15], s[36:37], s[34:35]
	s_mov_b32 s34, 0x623fde64
	s_mov_b32 s35, 0x3ec71dee
	s_delay_alu instid0(VALU_DEP_2) | instskip(NEXT) | instid1(VALU_DEP_2)
	v_fma_f64 v[8:9], v[5:6], v[10:11], -v[8:9]
	v_fma_f64 v[16:17], v[14:15], v[16:17], s[34:35]
	s_mov_b32 s34, 0xcea8a32d
	s_mov_b32 s35, 0x3fa93e8a
	s_delay_alu instid0(VALU_DEP_2) | instid1(SALU_CYCLE_1)
	v_add_f64 v[8:9], v[8:9], s[34:35]
	s_mov_b32 s34, 0x7c89e6b0
	s_mov_b32 s35, 0x3efa0199
	s_delay_alu instid0(VALU_DEP_2) | instid1(SALU_CYCLE_1)
	v_fma_f64 v[16:17], v[14:15], v[16:17], s[34:35]
	s_mov_b32 s34, 0x14761f6e
	s_mov_b32 s35, 0x3f2a01a0
	s_delay_alu instid0(VALU_DEP_2) | instskip(NEXT) | instid1(VALU_DEP_2)
	v_fma_f64 v[10:11], v[5:6], v[8:9], -v[10:11]
	v_fma_f64 v[16:17], v[14:15], v[16:17], s[34:35]
	s_mov_b32 s34, 0x342d06ea
	s_mov_b32 s35, 0xbfb84b70
	s_delay_alu instid0(VALU_DEP_2) | instid1(SALU_CYCLE_1)
	v_add_f64 v[10:11], v[10:11], s[34:35]
	s_mov_b32 s34, 0x1852b7b0
	s_mov_b32 s35, 0x3f56c16c
	s_delay_alu instid0(VALU_DEP_2) | instid1(SALU_CYCLE_1)
	;; [unrolled: 13-line block ×4, first 2 shown]
	v_fma_f64 v[16:17], v[14:15], v[16:17], s[34:35]
	s_mov_b32 s34, 0x9035a22a
	s_mov_b32 s35, 0x3fe5a84e
	s_delay_alu instid0(VALU_DEP_2) | instskip(NEXT) | instid1(VALU_DEP_2)
	v_fma_f64 v[5:6], v[5:6], v[10:11], -v[8:9]
	v_fma_f64 v[10:11], v[14:15], v[16:17], 1.0
	s_delay_alu instid0(VALU_DEP_2) | instskip(NEXT) | instid1(VALU_DEP_2)
	v_add_f64 v[5:6], v[5:6], s[34:35]
	v_fma_f64 v[10:11], v[14:15], v[10:11], 1.0
	s_delay_alu instid0(VALU_DEP_2) | instskip(NEXT) | instid1(VALU_DEP_2)
	v_add_f64 v[5:6], v[5:6], -v[8:9]
	v_ldexp_f64 v[8:9], v[10:11], v12
	s_delay_alu instid0(VALU_DEP_2) | instskip(NEXT) | instid1(VALU_DEP_2)
	v_mul_f64 v[5:6], v[5:6], 0.5
	v_cndmask_b32_e32 v9, 0x7ff00000, v9, vcc_lo
	s_delay_alu instid0(VALU_DEP_3) | instskip(NEXT) | instid1(VALU_DEP_1)
	v_cndmask_b32_e32 v8, 0, v8, vcc_lo
	v_mul_f64 v[5:6], v[8:9], v[5:6]
.LBB7_156:
	s_and_not1_saveexec_b32 s31, s2
	s_cbranch_execz .LBB7_158
; %bb.157:
	v_div_scale_f64 v[5:6], null, v[1:2], v[1:2], 0x40400000
	v_div_scale_f64 v[12:13], vcc_lo, 0x40400000, v[1:2], 0x40400000
	s_mov_b32 s34, 0x66119130
	s_mov_b32 s35, 0xbc5646da
	;; [unrolled: 1-line block ×4, first 2 shown]
	v_cmp_nlt_f64_e64 s2, 0x40900000, v[1:2]
	s_delay_alu instid0(VALU_DEP_3) | instskip(SKIP_2) | instid1(VALU_DEP_1)
	v_rcp_f64_e32 v[8:9], v[5:6]
	s_waitcnt_depctr 0xfff
	v_fma_f64 v[10:11], -v[5:6], v[8:9], 1.0
	v_fma_f64 v[8:9], v[8:9], v[10:11], v[8:9]
	s_delay_alu instid0(VALU_DEP_1) | instskip(NEXT) | instid1(VALU_DEP_1)
	v_fma_f64 v[10:11], -v[5:6], v[8:9], 1.0
	v_fma_f64 v[8:9], v[8:9], v[10:11], v[8:9]
	s_delay_alu instid0(VALU_DEP_1) | instskip(NEXT) | instid1(VALU_DEP_1)
	v_mul_f64 v[10:11], v[12:13], v[8:9]
	v_fma_f64 v[5:6], -v[5:6], v[10:11], v[12:13]
	s_delay_alu instid0(VALU_DEP_1) | instskip(SKIP_1) | instid1(VALU_DEP_2)
	v_div_fmas_f64 v[5:6], v[5:6], v[8:9], v[10:11]
	v_cmp_gt_f64_e32 vcc_lo, 0x10000000, v[1:2]
	v_div_fixup_f64 v[5:6], v[5:6], v[1:2], 0x40400000
	v_cndmask_b32_e64 v18, 0, 1, vcc_lo
	s_delay_alu instid0(VALU_DEP_1) | instskip(NEXT) | instid1(VALU_DEP_1)
	v_lshlrev_b32_e32 v18, 8, v18
	v_ldexp_f64 v[18:19], v[1:2], v18
	s_delay_alu instid0(VALU_DEP_4) | instskip(NEXT) | instid1(VALU_DEP_2)
	v_add_f64 v[5:6], v[5:6], -2.0
	v_rsq_f64_e32 v[20:21], v[18:19]
	s_delay_alu instid0(VALU_DEP_1)
	v_fma_f64 v[8:9], v[5:6], s[36:37], s[34:35]
	s_mov_b32 s37, 0x3c60adb7
	s_mov_b32 s34, 0x12d98421
	;; [unrolled: 1-line block ×3, first 2 shown]
	s_waitcnt_depctr 0xfff
	v_mul_f64 v[22:23], v[18:19], v[20:21]
	v_mul_f64 v[20:21], v[20:21], 0.5
	v_fma_f64 v[10:11], v[5:6], v[8:9], s[36:37]
	s_mov_b32 s36, 0x6a5dcb37
	s_mov_b32 s37, 0x3e5ade15
	s_delay_alu instid0(VALU_DEP_2) | instskip(NEXT) | instid1(VALU_DEP_2)
	v_fma_f64 v[24:25], -v[20:21], v[22:23], 0.5
	v_add_f64 v[10:11], v[10:11], s[34:35]
	s_mov_b32 s34, 0x76041cd
	s_mov_b32 s35, 0x3c83f3dd
	s_delay_alu instid0(VALU_DEP_2) | instskip(SKIP_1) | instid1(VALU_DEP_3)
	v_fma_f64 v[22:23], v[22:23], v[24:25], v[22:23]
	v_fma_f64 v[20:21], v[20:21], v[24:25], v[20:21]
	v_fma_f64 v[8:9], v[5:6], v[10:11], -v[8:9]
	s_delay_alu instid0(VALU_DEP_3) | instskip(NEXT) | instid1(VALU_DEP_2)
	v_fma_f64 v[24:25], -v[22:23], v[22:23], v[18:19]
	v_add_f64 v[8:9], v[8:9], s[34:35]
	s_mov_b32 s34, 0xabd21fe4
	s_mov_b32 s35, 0xbcb4600b
	s_delay_alu instid0(VALU_DEP_1) | instskip(NEXT) | instid1(VALU_DEP_1)
	v_fma_f64 v[10:11], v[5:6], v[8:9], -v[10:11]
	v_add_f64 v[10:11], v[10:11], s[34:35]
	s_mov_b32 s34, 0xd908de38
	s_mov_b32 s35, 0xbcb8aee7
	s_delay_alu instid0(VALU_DEP_1) | instskip(NEXT) | instid1(VALU_DEP_1)
	v_fma_f64 v[8:9], v[5:6], v[10:11], -v[8:9]
	;; [unrolled: 5-line block ×14, first 2 shown]
	v_add_f64 v[8:9], v[8:9], s[34:35]
	s_mov_b32 s34, 0x652b82fe
	s_mov_b32 s35, 0x3ff71547
	s_delay_alu instid0(SALU_CYCLE_1) | instskip(SKIP_2) | instid1(VALU_DEP_2)
	v_mul_f64 v[12:13], v[1:2], s[34:35]
	s_mov_b32 s34, 0xa9225b87
	s_mov_b32 s35, 0x3e2d2c64
	v_fma_f64 v[10:11], v[5:6], v[8:9], -v[10:11]
	s_delay_alu instid0(VALU_DEP_2) | instskip(NEXT) | instid1(VALU_DEP_2)
	v_rndne_f64_e32 v[12:13], v[12:13]
	v_add_f64 v[10:11], v[10:11], s[34:35]
	s_mov_b32 s34, 0xfefa39ef
	s_mov_b32 s35, 0xbfe62e42
	s_delay_alu instid0(VALU_DEP_2) | instid1(SALU_CYCLE_1)
	v_fma_f64 v[14:15], v[12:13], s[34:35], v[1:2]
	s_mov_b32 s34, 0x3b39803f
	s_mov_b32 s35, 0xbc7abc9e
	s_delay_alu instid0(VALU_DEP_2) | instskip(NEXT) | instid1(VALU_DEP_2)
	v_fma_f64 v[8:9], v[5:6], v[10:11], -v[8:9]
	v_fma_f64 v[14:15], v[12:13], s[34:35], v[14:15]
	s_mov_b32 s34, 0x80d6d56d
	s_mov_b32 s35, 0x3e585692
	s_delay_alu instid0(VALU_DEP_2) | instid1(SALU_CYCLE_1)
	v_add_f64 v[8:9], v[8:9], s[34:35]
	s_mov_b32 s34, 0xfca7ab0c
	s_mov_b32 s35, 0x3e928af3
	s_delay_alu instid0(VALU_DEP_2) | instid1(SALU_CYCLE_1)
	v_fma_f64 v[16:17], v[14:15], s[36:37], s[34:35]
	s_mov_b32 s34, 0x623fde64
	s_mov_b32 s35, 0x3ec71dee
	s_delay_alu instid0(VALU_DEP_2) | instskip(NEXT) | instid1(VALU_DEP_2)
	v_fma_f64 v[10:11], v[5:6], v[8:9], -v[10:11]
	v_fma_f64 v[16:17], v[14:15], v[16:17], s[34:35]
	s_mov_b32 s34, 0xd9cd616e
	s_mov_b32 s35, 0x3e8b8007
	s_delay_alu instid0(VALU_DEP_2) | instid1(SALU_CYCLE_1)
	;; [unrolled: 13-line block ×5, first 2 shown]
	v_add_f64 v[8:9], v[8:9], s[34:35]
	s_mov_b32 s34, 11
	s_mov_b32 s35, 0x3fe00000
	s_delay_alu instid0(VALU_DEP_2) | instid1(SALU_CYCLE_1)
	v_fma_f64 v[16:17], v[14:15], v[16:17], s[34:35]
	s_mov_b32 s34, 0xaca809cb
	s_mov_b32 s35, 0x3fe9be62
	s_delay_alu instid0(VALU_DEP_2) | instskip(SKIP_2) | instid1(VALU_DEP_4)
	v_fma_f64 v[5:6], v[5:6], v[8:9], -v[10:11]
	v_fma_f64 v[8:9], v[24:25], v[20:21], v[22:23]
	v_cvt_i32_f64_e32 v22, v[12:13]
	v_fma_f64 v[16:17], v[14:15], v[16:17], 1.0
	s_delay_alu instid0(VALU_DEP_4) | instskip(NEXT) | instid1(VALU_DEP_4)
	v_add_f64 v[5:6], v[5:6], s[34:35]
	v_fma_f64 v[12:13], -v[8:9], v[8:9], v[18:19]
	s_delay_alu instid0(VALU_DEP_3) | instskip(NEXT) | instid1(VALU_DEP_3)
	v_fma_f64 v[14:15], v[14:15], v[16:17], 1.0
	v_add_f64 v[5:6], v[5:6], -v[10:11]
	s_delay_alu instid0(VALU_DEP_3) | instskip(SKIP_4) | instid1(VALU_DEP_4)
	v_fma_f64 v[8:9], v[12:13], v[20:21], v[8:9]
	v_cndmask_b32_e64 v12, 0, 0xffffff80, vcc_lo
	v_cmp_class_f64_e64 vcc_lo, v[18:19], 0x260
	v_ldexp_f64 v[10:11], v[14:15], v22
	v_mul_f64 v[5:6], v[5:6], 0.5
	v_ldexp_f64 v[8:9], v[8:9], v12
	s_delay_alu instid0(VALU_DEP_3) | instskip(NEXT) | instid1(VALU_DEP_4)
	v_cndmask_b32_e64 v11, 0x7ff00000, v11, s2
	v_cndmask_b32_e64 v10, 0, v10, s2
	s_delay_alu instid0(VALU_DEP_1) | instskip(NEXT) | instid1(VALU_DEP_4)
	v_mul_f64 v[5:6], v[10:11], v[5:6]
	v_dual_cndmask_b32 v9, v9, v19 :: v_dual_cndmask_b32 v8, v8, v18
	s_delay_alu instid0(VALU_DEP_1) | instskip(NEXT) | instid1(VALU_DEP_1)
	v_div_scale_f64 v[10:11], null, v[8:9], v[8:9], v[5:6]
	v_rcp_f64_e32 v[12:13], v[10:11]
	s_waitcnt_depctr 0xfff
	v_fma_f64 v[14:15], -v[10:11], v[12:13], 1.0
	s_delay_alu instid0(VALU_DEP_1) | instskip(NEXT) | instid1(VALU_DEP_1)
	v_fma_f64 v[12:13], v[12:13], v[14:15], v[12:13]
	v_fma_f64 v[14:15], -v[10:11], v[12:13], 1.0
	s_delay_alu instid0(VALU_DEP_1) | instskip(SKIP_1) | instid1(VALU_DEP_1)
	v_fma_f64 v[12:13], v[12:13], v[14:15], v[12:13]
	v_div_scale_f64 v[14:15], vcc_lo, v[5:6], v[8:9], v[5:6]
	v_mul_f64 v[16:17], v[14:15], v[12:13]
	s_delay_alu instid0(VALU_DEP_1) | instskip(NEXT) | instid1(VALU_DEP_1)
	v_fma_f64 v[10:11], -v[10:11], v[16:17], v[14:15]
	v_div_fmas_f64 v[10:11], v[10:11], v[12:13], v[16:17]
	s_delay_alu instid0(VALU_DEP_1)
	v_div_fixup_f64 v[5:6], v[10:11], v[8:9], v[5:6]
.LBB7_158:
	s_or_b32 exec_lo, exec_lo, s31
	s_delay_alu instid0(VALU_DEP_2)
	v_frexp_mant_f64_e32 v[8:9], v[3:4]
	s_mov_b32 s35, 0x3fe55555
	s_mov_b32 s34, 0x55555555
	v_mov_b32_e32 v10, 0
	s_mov_b32 s36, 0x6b47b09a
	s_mov_b32 s38, 0xbf559e2b
	;; [unrolled: 1-line block ×4, first 2 shown]
	v_fma_f64 v[1:2], v[1:2], v[1:2], -2.0
	s_delay_alu instid0(VALU_DEP_3) | instskip(SKIP_2) | instid1(VALU_DEP_1)
	v_cmp_gt_f64_e32 vcc_lo, s[34:35], v[8:9]
	s_mov_b32 s34, 0x55555780
	v_cndmask_b32_e64 v11, 0x3ff00000, 2.0, vcc_lo
	v_mul_f64 v[8:9], v[8:9], v[10:11]
	s_delay_alu instid0(VALU_DEP_1) | instskip(SKIP_1) | instid1(VALU_DEP_2)
	v_add_f64 v[10:11], v[8:9], 1.0
	v_add_f64 v[16:17], v[8:9], -1.0
	v_rcp_f64_e32 v[12:13], v[10:11]
	v_add_f64 v[18:19], v[10:11], -1.0
	s_delay_alu instid0(VALU_DEP_1) | instskip(SKIP_2) | instid1(VALU_DEP_1)
	v_add_f64 v[8:9], v[8:9], -v[18:19]
	s_waitcnt_depctr 0xfff
	v_fma_f64 v[14:15], -v[10:11], v[12:13], 1.0
	v_fma_f64 v[12:13], v[14:15], v[12:13], v[12:13]
	s_delay_alu instid0(VALU_DEP_1) | instskip(NEXT) | instid1(VALU_DEP_1)
	v_fma_f64 v[14:15], -v[10:11], v[12:13], 1.0
	v_fma_f64 v[12:13], v[14:15], v[12:13], v[12:13]
	s_delay_alu instid0(VALU_DEP_1) | instskip(NEXT) | instid1(VALU_DEP_1)
	v_mul_f64 v[14:15], v[16:17], v[12:13]
	v_mul_f64 v[20:21], v[10:11], v[14:15]
	s_delay_alu instid0(VALU_DEP_1) | instskip(NEXT) | instid1(VALU_DEP_1)
	v_fma_f64 v[10:11], v[14:15], v[10:11], -v[20:21]
	v_fma_f64 v[8:9], v[14:15], v[8:9], v[10:11]
	s_delay_alu instid0(VALU_DEP_1) | instskip(NEXT) | instid1(VALU_DEP_1)
	v_add_f64 v[10:11], v[20:21], v[8:9]
	v_add_f64 v[18:19], v[16:17], -v[10:11]
	v_add_f64 v[20:21], v[10:11], -v[20:21]
	s_delay_alu instid0(VALU_DEP_2) | instskip(NEXT) | instid1(VALU_DEP_2)
	v_add_f64 v[16:17], v[16:17], -v[18:19]
	v_add_f64 v[8:9], v[20:21], -v[8:9]
	v_frexp_exp_i32_f64_e32 v20, v[3:4]
	s_delay_alu instid0(VALU_DEP_3) | instskip(NEXT) | instid1(VALU_DEP_1)
	v_add_f64 v[10:11], v[16:17], -v[10:11]
	v_add_f64 v[8:9], v[8:9], v[10:11]
	s_delay_alu instid0(VALU_DEP_1) | instskip(NEXT) | instid1(VALU_DEP_1)
	v_add_f64 v[8:9], v[18:19], v[8:9]
	v_mul_f64 v[8:9], v[12:13], v[8:9]
	s_delay_alu instid0(VALU_DEP_1) | instskip(NEXT) | instid1(VALU_DEP_1)
	v_add_f64 v[10:11], v[14:15], v[8:9]
	v_mul_f64 v[12:13], v[10:11], v[10:11]
	s_delay_alu instid0(VALU_DEP_1) | instskip(SKIP_3) | instid1(VALU_DEP_2)
	v_fma_f64 v[16:17], v[12:13], s[38:39], s[36:37]
	s_mov_b32 s36, 0xd7f4df2e
	s_mov_b32 s37, 0x3fc7474d
	v_mul_f64 v[18:19], v[10:11], v[12:13]
	v_fma_f64 v[16:17], v[12:13], v[16:17], s[36:37]
	s_mov_b32 s36, 0x16291751
	s_mov_b32 s37, 0x3fcc71c0
	s_delay_alu instid0(VALU_DEP_1) | instid1(SALU_CYCLE_1)
	v_fma_f64 v[16:17], v[12:13], v[16:17], s[36:37]
	s_mov_b32 s36, 0x9b27acf1
	s_mov_b32 s37, 0x3fd24924
	s_delay_alu instid0(VALU_DEP_1) | instid1(SALU_CYCLE_1)
	;; [unrolled: 4-line block ×3, first 2 shown]
	v_fma_f64 v[16:17], v[12:13], v[16:17], s[36:37]
	s_mov_b32 s37, 0x3ca3cee1
	s_mov_b32 s36, 0xe6a7fd77
	s_delay_alu instid0(VALU_DEP_1) | instskip(SKIP_4) | instid1(VALU_DEP_3)
	v_fma_f64 v[12:13], v[12:13], v[16:17], s[34:35]
	v_ldexp_f64 v[16:17], v[10:11], 1
	v_add_f64 v[10:11], v[10:11], -v[14:15]
	s_mov_b32 s34, 0xc384c2aa
	s_mov_b32 s35, 0x3d27fb0a
	v_mul_f64 v[12:13], v[18:19], v[12:13]
	v_subrev_co_ci_u32_e32 v18, vcc_lo, 0, v20, vcc_lo
	v_fma_f64 v[20:21], v[1:2], s[36:37], s[34:35]
	s_mov_b32 s34, 0xfefa39ef
	s_mov_b32 s35, 0x3fe62e42
	s_delay_alu instid0(VALU_DEP_2) | instskip(SKIP_4) | instid1(VALU_DEP_4)
	v_cvt_f64_i32_e32 v[18:19], v18
	v_add_f64 v[8:9], v[8:9], -v[10:11]
	s_mov_b32 s37, 0xbca3cee1
	v_cmp_eq_f64_e32 vcc_lo, 0x7ff00000, v[3:4]
	v_add_f64 v[14:15], v[16:17], v[12:13]
	v_mul_f64 v[22:23], v[18:19], s[34:35]
	s_delay_alu instid0(VALU_DEP_4) | instskip(NEXT) | instid1(VALU_DEP_3)
	v_ldexp_f64 v[8:9], v[8:9], 1
	v_add_f64 v[10:11], v[14:15], -v[16:17]
	v_fma_f64 v[16:17], v[1:2], v[20:21], s[36:37]
	s_delay_alu instid0(VALU_DEP_4) | instskip(SKIP_2) | instid1(VALU_DEP_3)
	v_fma_f64 v[24:25], v[18:19], s[34:35], -v[22:23]
	s_mov_b32 s34, 0x47512144
	s_mov_b32 s35, 0x3da6c25c
	v_add_f64 v[10:11], v[12:13], -v[10:11]
	s_delay_alu instid0(VALU_DEP_3)
	v_add_f64 v[12:13], v[16:17], s[34:35]
	s_mov_b32 s34, 0x3b39803f
	s_mov_b32 s35, 0x3c7abc9e
	s_delay_alu instid0(VALU_DEP_3) | instid1(SALU_CYCLE_1)
	v_fma_f64 v[16:17], v[18:19], s[34:35], v[24:25]
	s_mov_b32 s34, 0x67e58a13
	s_mov_b32 s35, 0x3e205c13
	s_delay_alu instid0(VALU_DEP_3) | instskip(NEXT) | instid1(VALU_DEP_3)
	v_add_f64 v[8:9], v[8:9], v[10:11]
	v_fma_f64 v[10:11], v[1:2], v[12:13], -v[20:21]
	s_delay_alu instid0(VALU_DEP_3) | instskip(NEXT) | instid1(VALU_DEP_3)
	v_add_f64 v[18:19], v[22:23], v[16:17]
	v_add_f64 v[20:21], v[14:15], v[8:9]
	s_delay_alu instid0(VALU_DEP_3) | instskip(SKIP_2) | instid1(VALU_DEP_3)
	v_add_f64 v[10:11], v[10:11], s[34:35]
	s_mov_b32 s34, 0xe7f95efc
	s_mov_b32 s35, 0x3e9102bc
	v_add_f64 v[22:23], v[18:19], -v[22:23]
	s_delay_alu instid0(VALU_DEP_3) | instskip(NEXT) | instid1(VALU_DEP_3)
	v_add_f64 v[24:25], v[18:19], v[20:21]
	v_fma_f64 v[12:13], v[1:2], v[10:11], -v[12:13]
	v_add_f64 v[14:15], v[20:21], -v[14:15]
	s_delay_alu instid0(VALU_DEP_4) | instskip(NEXT) | instid1(VALU_DEP_4)
	v_add_f64 v[16:17], v[16:17], -v[22:23]
	v_add_f64 v[26:27], v[24:25], -v[18:19]
	s_delay_alu instid0(VALU_DEP_4) | instskip(NEXT) | instid1(VALU_DEP_4)
	v_add_f64 v[12:13], v[12:13], s[34:35]
	v_add_f64 v[8:9], v[8:9], -v[14:15]
	s_mov_b32 s34, 0xfe8cfca0
	s_mov_b32 s35, 0x3ef7f900
	s_delay_alu instid0(VALU_DEP_3) | instskip(NEXT) | instid1(VALU_DEP_3)
	v_add_f64 v[28:29], v[24:25], -v[26:27]
	v_fma_f64 v[10:11], v[1:2], v[12:13], -v[10:11]
	v_add_f64 v[14:15], v[20:21], -v[26:27]
	s_delay_alu instid0(VALU_DEP_4) | instskip(NEXT) | instid1(VALU_DEP_4)
	v_add_f64 v[20:21], v[16:17], v[8:9]
	v_add_f64 v[18:19], v[18:19], -v[28:29]
	s_delay_alu instid0(VALU_DEP_4) | instskip(SKIP_2) | instid1(VALU_DEP_2)
	v_add_f64 v[10:11], v[10:11], s[34:35]
	s_mov_b32 s34, 0x75633d73
	s_mov_b32 s35, 0x3f54b82e
	v_add_f64 v[14:15], v[14:15], v[18:19]
	s_delay_alu instid0(VALU_DEP_2) | instskip(SKIP_1) | instid1(VALU_DEP_3)
	v_fma_f64 v[12:13], v[1:2], v[10:11], -v[12:13]
	v_add_f64 v[18:19], v[20:21], -v[16:17]
	v_add_f64 v[14:15], v[20:21], v[14:15]
	s_delay_alu instid0(VALU_DEP_3) | instskip(NEXT) | instid1(VALU_DEP_3)
	v_add_f64 v[12:13], v[12:13], s[34:35]
	v_add_f64 v[20:21], v[20:21], -v[18:19]
	v_add_f64 v[8:9], v[8:9], -v[18:19]
	s_mov_b32 s34, 0x554a9085
	s_mov_b32 s35, 0x3fa26bf6
	s_delay_alu instid0(VALU_DEP_4) | instskip(NEXT) | instid1(VALU_DEP_4)
	v_add_f64 v[22:23], v[24:25], v[14:15]
	v_fma_f64 v[10:11], v[1:2], v[12:13], -v[10:11]
	s_delay_alu instid0(VALU_DEP_4) | instskip(NEXT) | instid1(VALU_DEP_3)
	v_add_f64 v[16:17], v[16:17], -v[20:21]
	v_add_f64 v[18:19], v[22:23], -v[24:25]
	s_delay_alu instid0(VALU_DEP_3) | instskip(NEXT) | instid1(VALU_DEP_3)
	v_add_f64 v[10:11], v[10:11], s[34:35]
	v_add_f64 v[8:9], v[8:9], v[16:17]
	s_mov_b32 s34, 0x81213db9
	s_mov_b32 s35, 0x3fd608d8
	s_delay_alu instid0(VALU_DEP_3) | instskip(NEXT) | instid1(VALU_DEP_3)
	v_add_f64 v[14:15], v[14:15], -v[18:19]
	v_fma_f64 v[12:13], v[1:2], v[10:11], -v[12:13]
	s_delay_alu instid0(VALU_DEP_2) | instskip(NEXT) | instid1(VALU_DEP_2)
	v_add_f64 v[8:9], v[8:9], v[14:15]
	v_add_f64 v[12:13], v[12:13], s[34:35]
	s_mov_b32 s34, 0xe9d2f61f
	s_mov_b32 s35, 0xbfe12166
	s_delay_alu instid0(VALU_DEP_2) | instskip(NEXT) | instid1(VALU_DEP_2)
	v_add_f64 v[8:9], v[22:23], v[8:9]
	v_fma_f64 v[1:2], v[1:2], v[12:13], -v[10:11]
	s_delay_alu instid0(VALU_DEP_2) | instskip(SKIP_1) | instid1(VALU_DEP_3)
	v_dual_cndmask_b32 v9, v9, v4 :: v_dual_cndmask_b32 v8, v8, v3
	v_cmp_neq_f64_e32 vcc_lo, 0, v[3:4]
	v_add_f64 v[1:2], v[1:2], s[34:35]
	s_delay_alu instid0(VALU_DEP_3) | instskip(NEXT) | instid1(VALU_DEP_4)
	v_cndmask_b32_e32 v4, 0xfff00000, v9, vcc_lo
	v_cndmask_b32_e32 v3, 0, v8, vcc_lo
	s_delay_alu instid0(VALU_DEP_3) | instskip(NEXT) | instid1(VALU_DEP_2)
	v_add_f64 v[1:2], v[1:2], -v[10:11]
	v_mul_f64 v[3:4], v[3:4], v[5:6]
	s_delay_alu instid0(VALU_DEP_1)
	v_fma_f64 v[3:4], v[1:2], 0.5, -v[3:4]
                                        ; implicit-def: $vgpr1_vgpr2
.LBB7_159:
	s_and_not1_saveexec_b32 s21, s21
	s_cbranch_execz .LBB7_161
; %bb.160:
	v_div_scale_f64 v[3:4], null, v[1:2], v[1:2], 0x40200000
	v_div_scale_f64 v[10:11], vcc_lo, 0x40200000, v[1:2], 0x40200000
	s_mov_b32 s34, 0x93812603
	s_mov_b32 s35, 0xbc72fecc
	;; [unrolled: 1-line block ×4, first 2 shown]
	v_cmp_nlt_f64_e64 s2, 0x4090cc00, v[1:2]
	s_delay_alu instid0(VALU_DEP_3) | instskip(SKIP_2) | instid1(VALU_DEP_1)
	v_rcp_f64_e32 v[5:6], v[3:4]
	s_waitcnt_depctr 0xfff
	v_fma_f64 v[8:9], -v[3:4], v[5:6], 1.0
	v_fma_f64 v[5:6], v[5:6], v[8:9], v[5:6]
	s_delay_alu instid0(VALU_DEP_1) | instskip(NEXT) | instid1(VALU_DEP_1)
	v_fma_f64 v[8:9], -v[3:4], v[5:6], 1.0
	v_fma_f64 v[5:6], v[5:6], v[8:9], v[5:6]
	s_delay_alu instid0(VALU_DEP_1) | instskip(NEXT) | instid1(VALU_DEP_1)
	v_mul_f64 v[8:9], v[10:11], v[5:6]
	v_fma_f64 v[3:4], -v[3:4], v[8:9], v[10:11]
	s_delay_alu instid0(VALU_DEP_1) | instskip(SKIP_1) | instid1(VALU_DEP_2)
	v_div_fmas_f64 v[3:4], v[3:4], v[5:6], v[8:9]
	v_cmp_gt_f64_e32 vcc_lo, 0x10000000, v[1:2]
	v_div_fixup_f64 v[3:4], v[3:4], v[1:2], 0x40200000
	v_cndmask_b32_e64 v16, 0, 1, vcc_lo
	s_delay_alu instid0(VALU_DEP_1) | instskip(NEXT) | instid1(VALU_DEP_1)
	v_lshlrev_b32_e32 v16, 8, v16
	v_ldexp_f64 v[16:17], v[1:2], v16
	s_delay_alu instid0(VALU_DEP_4) | instskip(NEXT) | instid1(VALU_DEP_2)
	v_add_f64 v[3:4], v[3:4], -2.0
	v_rsq_f64_e32 v[18:19], v[16:17]
	s_delay_alu instid0(VALU_DEP_1)
	v_fma_f64 v[5:6], v[3:4], s[36:37], s[34:35]
	s_mov_b32 s37, 0xbc5871a5
	s_mov_b32 s34, 0x41a8cdf4
	;; [unrolled: 1-line block ×3, first 2 shown]
	s_waitcnt_depctr 0xfff
	v_mul_f64 v[20:21], v[16:17], v[18:19]
	v_mul_f64 v[18:19], v[18:19], 0.5
	v_fma_f64 v[8:9], v[3:4], v[5:6], s[36:37]
	s_mov_b32 s36, 0x6a5dcb37
	s_mov_b32 s37, 0x3e5ade15
	s_delay_alu instid0(VALU_DEP_2) | instskip(NEXT) | instid1(VALU_DEP_2)
	v_fma_f64 v[22:23], -v[18:19], v[20:21], 0.5
	v_add_f64 v[8:9], v[8:9], s[34:35]
	s_mov_b32 s34, 0x74d77641
	s_mov_b32 s35, 0xbca82f94
	s_delay_alu instid0(VALU_DEP_2) | instskip(SKIP_1) | instid1(VALU_DEP_3)
	v_fma_f64 v[20:21], v[20:21], v[22:23], v[20:21]
	v_fma_f64 v[18:19], v[18:19], v[22:23], v[18:19]
	v_fma_f64 v[5:6], v[3:4], v[8:9], -v[5:6]
	s_delay_alu instid0(VALU_DEP_3) | instskip(NEXT) | instid1(VALU_DEP_2)
	v_fma_f64 v[22:23], -v[20:21], v[20:21], v[16:17]
	v_add_f64 v[5:6], v[5:6], s[34:35]
	s_mov_b32 s34, 0x6b94785b
	s_mov_b32 s35, 0x3cc3dbf9
	s_delay_alu instid0(VALU_DEP_1) | instskip(NEXT) | instid1(VALU_DEP_1)
	v_fma_f64 v[8:9], v[3:4], v[5:6], -v[8:9]
	v_add_f64 v[8:9], v[8:9], s[34:35]
	s_mov_b32 s34, 0xecfadd36
	s_mov_b32 s35, 0xbce0a690
	s_delay_alu instid0(VALU_DEP_1) | instskip(NEXT) | instid1(VALU_DEP_1)
	v_fma_f64 v[5:6], v[3:4], v[8:9], -v[5:6]
	;; [unrolled: 5-line block ×14, first 2 shown]
	v_add_f64 v[5:6], v[5:6], s[34:35]
	s_mov_b32 s34, 0x652b82fe
	s_mov_b32 s35, 0xbff71547
	s_delay_alu instid0(SALU_CYCLE_1) | instskip(SKIP_2) | instid1(VALU_DEP_2)
	v_mul_f64 v[10:11], v[1:2], s[34:35]
	s_mov_b32 s34, 0x81e3e46f
	s_mov_b32 s35, 0x3e929159
	v_fma_f64 v[8:9], v[3:4], v[5:6], -v[8:9]
	s_delay_alu instid0(VALU_DEP_2) | instskip(NEXT) | instid1(VALU_DEP_2)
	v_rndne_f64_e32 v[10:11], v[10:11]
	v_add_f64 v[8:9], v[8:9], s[34:35]
	s_mov_b32 s34, 0xfefa39ef
	s_mov_b32 s35, 0xbfe62e42
	s_delay_alu instid0(VALU_DEP_2) | instid1(SALU_CYCLE_1)
	v_fma_f64 v[12:13], v[10:11], s[34:35], -v[1:2]
	s_mov_b32 s34, 0x3b39803f
	s_mov_b32 s35, 0xbc7abc9e
	s_delay_alu instid0(VALU_DEP_2) | instskip(NEXT) | instid1(VALU_DEP_2)
	v_fma_f64 v[5:6], v[3:4], v[8:9], -v[5:6]
	v_fma_f64 v[12:13], v[10:11], s[34:35], v[12:13]
	s_mov_b32 s34, 0x7f18d3a9
	s_mov_b32 s35, 0xbebebb54
	s_delay_alu instid0(VALU_DEP_2) | instid1(SALU_CYCLE_1)
	v_add_f64 v[5:6], v[5:6], s[34:35]
	s_mov_b32 s34, 0xfca7ab0c
	s_mov_b32 s35, 0x3e928af3
	s_delay_alu instid0(VALU_DEP_2) | instid1(SALU_CYCLE_1)
	v_fma_f64 v[14:15], v[12:13], s[36:37], s[34:35]
	s_mov_b32 s34, 0x623fde64
	s_mov_b32 s35, 0x3ec71dee
	s_delay_alu instid0(VALU_DEP_2) | instskip(NEXT) | instid1(VALU_DEP_2)
	v_fma_f64 v[8:9], v[3:4], v[5:6], -v[8:9]
	v_fma_f64 v[14:15], v[12:13], v[14:15], s[34:35]
	s_mov_b32 s34, 0xcc7470a9
	s_mov_b32 s35, 0x3eed413f
	s_delay_alu instid0(VALU_DEP_2) | instid1(SALU_CYCLE_1)
	v_add_f64 v[8:9], v[8:9], s[34:35]
	s_mov_b32 s34, 0x7c89e6b0
	s_mov_b32 s35, 0x3efa0199
	s_delay_alu instid0(VALU_DEP_2) | instid1(SALU_CYCLE_1)
	v_fma_f64 v[14:15], v[12:13], v[14:15], s[34:35]
	;; [unrolled: 13-line block ×5, first 2 shown]
	s_mov_b32 s34, 0x9f4e6907
	s_mov_b32 s35, 0x400385bd
	s_delay_alu instid0(VALU_DEP_2) | instskip(SKIP_2) | instid1(VALU_DEP_4)
	v_fma_f64 v[3:4], v[3:4], v[5:6], -v[8:9]
	v_fma_f64 v[5:6], v[22:23], v[18:19], v[20:21]
	v_cvt_i32_f64_e32 v20, v[10:11]
	v_fma_f64 v[14:15], v[12:13], v[14:15], 1.0
	s_delay_alu instid0(VALU_DEP_4) | instskip(NEXT) | instid1(VALU_DEP_4)
	v_add_f64 v[3:4], v[3:4], s[34:35]
	v_fma_f64 v[10:11], -v[5:6], v[5:6], v[16:17]
	s_delay_alu instid0(VALU_DEP_3) | instskip(NEXT) | instid1(VALU_DEP_3)
	v_fma_f64 v[12:13], v[12:13], v[14:15], 1.0
	v_add_f64 v[3:4], v[3:4], -v[8:9]
	s_delay_alu instid0(VALU_DEP_3) | instskip(NEXT) | instid1(VALU_DEP_3)
	v_fma_f64 v[5:6], v[10:11], v[18:19], v[5:6]
	v_ldexp_f64 v[8:9], v[12:13], v20
	s_delay_alu instid0(VALU_DEP_3) | instskip(SKIP_2) | instid1(VALU_DEP_2)
	v_mul_f64 v[1:2], v[3:4], 0.5
	v_cndmask_b32_e64 v3, 0, 0xffffff80, vcc_lo
	v_cmp_class_f64_e64 vcc_lo, v[16:17], 0x260
	v_ldexp_f64 v[3:4], v[5:6], v3
	v_cndmask_b32_e64 v6, 0, v9, s2
	v_cndmask_b32_e64 v5, 0, v8, s2
	s_delay_alu instid0(VALU_DEP_1) | instskip(NEXT) | instid1(VALU_DEP_4)
	v_mul_f64 v[1:2], v[5:6], v[1:2]
	v_dual_cndmask_b32 v4, v4, v17 :: v_dual_cndmask_b32 v3, v3, v16
	s_delay_alu instid0(VALU_DEP_1) | instskip(NEXT) | instid1(VALU_DEP_1)
	v_div_scale_f64 v[5:6], null, v[3:4], v[3:4], v[1:2]
	v_rcp_f64_e32 v[8:9], v[5:6]
	s_waitcnt_depctr 0xfff
	v_fma_f64 v[10:11], -v[5:6], v[8:9], 1.0
	s_delay_alu instid0(VALU_DEP_1) | instskip(NEXT) | instid1(VALU_DEP_1)
	v_fma_f64 v[8:9], v[8:9], v[10:11], v[8:9]
	v_fma_f64 v[10:11], -v[5:6], v[8:9], 1.0
	s_delay_alu instid0(VALU_DEP_1) | instskip(SKIP_1) | instid1(VALU_DEP_1)
	v_fma_f64 v[8:9], v[8:9], v[10:11], v[8:9]
	v_div_scale_f64 v[10:11], vcc_lo, v[1:2], v[3:4], v[1:2]
	v_mul_f64 v[12:13], v[10:11], v[8:9]
	s_delay_alu instid0(VALU_DEP_1) | instskip(NEXT) | instid1(VALU_DEP_1)
	v_fma_f64 v[5:6], -v[5:6], v[12:13], v[10:11]
	v_div_fmas_f64 v[5:6], v[5:6], v[8:9], v[12:13]
	s_delay_alu instid0(VALU_DEP_1)
	v_div_fixup_f64 v[3:4], v[5:6], v[3:4], v[1:2]
.LBB7_161:
	s_or_b32 exec_lo, exec_lo, s21
.LBB7_162:
	s_delay_alu instid0(SALU_CYCLE_1)
	s_or_b32 exec_lo, exec_lo, s20
.LBB7_163:
	s_delay_alu instid0(SALU_CYCLE_1) | instskip(SKIP_3) | instid1(SALU_CYCLE_1)
	s_or_b32 exec_lo, exec_lo, s3
	v_add_nc_u32_e32 v7, 0x80, v7
	global_store_b64 v0, v[3:4], s[4:5]
	s_or_b32 exec_lo, exec_lo, s30
	s_mov_b32 s30, exec_lo
	v_cmpx_gt_i32_e64 s27, v7
	s_cbranch_execnz .LBB7_138
.LBB7_164:
	s_or_b32 exec_lo, exec_lo, s30
	s_delay_alu instid0(SALU_CYCLE_1)
	s_mov_b32 s20, exec_lo
	v_cmpx_gt_i32_e64 s27, v7
	s_cbranch_execnz .LBB7_187
.LBB7_165:
	s_or_b32 exec_lo, exec_lo, s20
                                        ; implicit-def: $vgpr6
                                        ; implicit-def: $vgpr7
	s_and_not1_saveexec_b32 s2, s25
	s_cbranch_execnz .LBB7_8
.LBB7_166:
	s_nop 0
	s_sendmsg sendmsg(MSG_DEALLOC_VGPRS)
	s_endpgm
.LBB7_167:
	v_dual_mov_b32 v2, v7 :: v_dual_mov_b32 v1, 0
.LBB7_168:
	s_and_b32 s34, s34, 3
	s_delay_alu instid0(SALU_CYCLE_1)
	s_cmp_eq_u32 s34, 0
	s_cbranch_scc1 .LBB7_171
; %bb.169:
	s_lshl_b32 s2, s33, 3
	s_mul_i32 s20, s33, 12
	s_add_u32 s2, s2, s0
	s_addc_u32 s3, s1, 0
	s_add_u32 s2, s2, 0xc4
	s_addc_u32 s3, s3, 0
	;; [unrolled: 2-line block ×3, first 2 shown]
	.p2align	6
.LBB7_170:                              ; =>This Inner Loop Header: Depth=1
	s_clause 0x1
	s_load_b64 s[36:37], s[20:21], 0x4
	s_load_b32 s33, s[20:21], 0xc
	s_load_b64 s[38:39], s[2:3], 0x0
	s_add_u32 s20, s20, 12
	s_addc_u32 s21, s21, 0
	s_add_u32 s2, s2, 8
	s_addc_u32 s3, s3, 0
	s_add_i32 s34, s34, -1
	s_delay_alu instid0(SALU_CYCLE_1) | instskip(SKIP_2) | instid1(VALU_DEP_1)
	s_cmp_lg_u32 s34, 0
	s_waitcnt lgkmcnt(0)
	v_mul_hi_u32 v3, s37, v2
	v_add_nc_u32_e32 v3, v2, v3
	s_delay_alu instid0(VALU_DEP_1) | instskip(NEXT) | instid1(VALU_DEP_1)
	v_lshrrev_b32_e32 v6, s33, v3
	v_mul_lo_u32 v3, v6, s36
	s_delay_alu instid0(VALU_DEP_1) | instskip(NEXT) | instid1(VALU_DEP_1)
	v_sub_nc_u32_e32 v2, v2, v3
	v_mad_u64_u32 v[3:4], null, v2, s38, v[0:1]
	v_mad_u64_u32 v[4:5], null, v2, s39, v[1:2]
	v_mov_b32_e32 v2, v6
	s_delay_alu instid0(VALU_DEP_2)
	v_dual_mov_b32 v0, v3 :: v_dual_mov_b32 v1, v4
	s_cbranch_scc1 .LBB7_170
.LBB7_171:
	s_and_not1_b32 vcc_lo, exec_lo, s31
	s_cbranch_vccnz .LBB7_174
; %bb.172:
	s_waitcnt lgkmcnt(0)
	v_mul_hi_u32 v0, s13, v7
	s_and_not1_b32 vcc_lo, exec_lo, s26
	s_delay_alu instid0(VALU_DEP_1) | instskip(NEXT) | instid1(VALU_DEP_1)
	v_add_nc_u32_e32 v0, v7, v0
	v_lshrrev_b32_e32 v2, s14, v0
	s_delay_alu instid0(VALU_DEP_1) | instskip(NEXT) | instid1(VALU_DEP_1)
	v_mul_lo_u32 v0, v2, s12
	v_sub_nc_u32_e32 v1, v7, v0
	s_delay_alu instid0(VALU_DEP_1)
	v_mul_lo_u32 v0, v1, s8
	v_mul_lo_u32 v1, v1, s9
	s_cbranch_vccnz .LBB7_174
; %bb.173:
	v_mul_hi_u32 v3, s16, v2
	s_delay_alu instid0(VALU_DEP_1) | instskip(NEXT) | instid1(VALU_DEP_1)
	v_add_nc_u32_e32 v3, v2, v3
	v_lshrrev_b32_e32 v3, s17, v3
	s_delay_alu instid0(VALU_DEP_1) | instskip(NEXT) | instid1(VALU_DEP_1)
	v_mul_lo_u32 v3, v3, s15
	v_sub_nc_u32_e32 v5, v2, v3
	s_delay_alu instid0(VALU_DEP_1) | instskip(NEXT) | instid1(VALU_DEP_1)
	v_mad_u64_u32 v[2:3], null, v5, s10, v[0:1]
	v_mad_u64_u32 v[3:4], null, v5, s11, v[1:2]
	s_delay_alu instid0(VALU_DEP_1)
	v_dual_mov_b32 v0, v2 :: v_dual_mov_b32 v1, v3
.LBB7_174:
	s_waitcnt lgkmcnt(0)
	global_load_b64 v[1:2], v1, s[6:7]
	v_mov_b32_e32 v3, 0
	v_mov_b32_e32 v4, 0x7ff00000
	s_mov_b32 s3, exec_lo
	s_waitcnt vmcnt(0)
	v_cmpx_neq_f64_e32 0, v[1:2]
	s_cbranch_execz .LBB7_186
; %bb.175:
	v_mov_b32_e32 v3, 0
	v_mov_b32_e32 v4, 0x7ff80000
	s_mov_b32 s20, exec_lo
	v_cmpx_ngt_f64_e32 0, v[1:2]
	s_cbranch_execz .LBB7_185
; %bb.176:
                                        ; implicit-def: $vgpr3_vgpr4
	s_mov_b32 s2, exec_lo
	v_cmpx_ge_f64_e32 2.0, v[1:2]
	s_xor_b32 s21, exec_lo, s2
	s_cbranch_execz .LBB7_182
; %bb.177:
	v_mul_f64 v[3:4], v[1:2], 0.5
	s_mov_b32 s2, exec_lo
                                        ; implicit-def: $vgpr5_vgpr6
	v_cmpx_ge_f64_e32 0x40200000, v[1:2]
	s_xor_b32 s2, exec_lo, s2
	s_cbranch_execz .LBB7_179
; %bb.178:
	s_delay_alu instid0(VALU_DEP_2)
	v_add_f64 v[5:6], v[3:4], -2.0
	s_mov_b32 s34, 0x977da589
	s_mov_b32 s35, 0x3c833362
	;; [unrolled: 1-line block ×4, first 2 shown]
	v_cmp_nlt_f64_e32 vcc_lo, 0x40900000, v[1:2]
	s_delay_alu instid0(VALU_DEP_2) | instskip(SKIP_3) | instid1(VALU_DEP_1)
	v_fma_f64 v[8:9], v[5:6], s[36:37], s[34:35]
	s_mov_b32 s37, 0x3c545cb7
	s_mov_b32 s34, 0x721ebbb4
	;; [unrolled: 1-line block ×3, first 2 shown]
	v_fma_f64 v[10:11], v[5:6], v[8:9], s[36:37]
	s_mov_b32 s36, 0x6a5dcb37
	s_mov_b32 s37, 0x3e5ade15
	s_delay_alu instid0(VALU_DEP_1) | instskip(SKIP_2) | instid1(VALU_DEP_1)
	v_add_f64 v[10:11], v[10:11], s[34:35]
	s_mov_b32 s34, 0x93f65eba
	s_mov_b32 s35, 0x3cdee6d8
	v_fma_f64 v[8:9], v[5:6], v[10:11], -v[8:9]
	s_delay_alu instid0(VALU_DEP_1) | instskip(SKIP_2) | instid1(VALU_DEP_1)
	v_add_f64 v[8:9], v[8:9], s[34:35]
	s_mov_b32 s34, 0xc297fbeb
	s_mov_b32 s35, 0xbd0a5022
	v_fma_f64 v[10:11], v[5:6], v[8:9], -v[10:11]
	;; [unrolled: 5-line block ×20, first 2 shown]
	s_delay_alu instid0(VALU_DEP_1) | instskip(SKIP_2) | instid1(SALU_CYCLE_1)
	v_add_f64 v[10:11], v[10:11], s[34:35]
	s_mov_b32 s34, 0x652b82fe
	s_mov_b32 s35, 0x3ff71547
	v_mul_f64 v[12:13], v[1:2], s[34:35]
	s_mov_b32 s34, 0xf3dde3dd
	s_mov_b32 s35, 0x3f859961
	s_delay_alu instid0(VALU_DEP_2) | instskip(NEXT) | instid1(VALU_DEP_2)
	v_fma_f64 v[8:9], v[5:6], v[10:11], -v[8:9]
	v_rndne_f64_e32 v[12:13], v[12:13]
	s_delay_alu instid0(VALU_DEP_2)
	v_add_f64 v[8:9], v[8:9], s[34:35]
	s_mov_b32 s34, 0xfefa39ef
	s_mov_b32 s35, 0xbfe62e42
	s_delay_alu instid0(VALU_DEP_2) | instid1(SALU_CYCLE_1)
	v_fma_f64 v[14:15], v[12:13], s[34:35], v[1:2]
	s_mov_b32 s34, 0x3b39803f
	s_mov_b32 s35, 0xbc7abc9e
	s_delay_alu instid0(VALU_DEP_2) | instskip(NEXT) | instid1(VALU_DEP_2)
	v_fma_f64 v[10:11], v[5:6], v[8:9], -v[10:11]
	v_fma_f64 v[14:15], v[12:13], s[34:35], v[14:15]
	s_mov_b32 s34, 0xf121b6f0
	s_mov_b32 s35, 0xbf984e9e
	v_cvt_i32_f64_e32 v12, v[12:13]
	s_delay_alu instid0(VALU_DEP_3)
	v_add_f64 v[10:11], v[10:11], s[34:35]
	s_mov_b32 s34, 0xfca7ab0c
	s_mov_b32 s35, 0x3e928af3
	s_delay_alu instid0(VALU_DEP_3) | instid1(SALU_CYCLE_1)
	v_fma_f64 v[16:17], v[14:15], s[36:37], s[34:35]
	s_mov_b32 s34, 0x623fde64
	s_mov_b32 s35, 0x3ec71dee
	s_delay_alu instid0(VALU_DEP_2) | instskip(NEXT) | instid1(VALU_DEP_2)
	v_fma_f64 v[8:9], v[5:6], v[10:11], -v[8:9]
	v_fma_f64 v[16:17], v[14:15], v[16:17], s[34:35]
	s_mov_b32 s34, 0xcea8a32d
	s_mov_b32 s35, 0x3fa93e8a
	s_delay_alu instid0(VALU_DEP_2) | instid1(SALU_CYCLE_1)
	v_add_f64 v[8:9], v[8:9], s[34:35]
	s_mov_b32 s34, 0x7c89e6b0
	s_mov_b32 s35, 0x3efa0199
	s_delay_alu instid0(VALU_DEP_2) | instid1(SALU_CYCLE_1)
	v_fma_f64 v[16:17], v[14:15], v[16:17], s[34:35]
	s_mov_b32 s34, 0x14761f6e
	s_mov_b32 s35, 0x3f2a01a0
	s_delay_alu instid0(VALU_DEP_2) | instskip(NEXT) | instid1(VALU_DEP_2)
	v_fma_f64 v[10:11], v[5:6], v[8:9], -v[10:11]
	v_fma_f64 v[16:17], v[14:15], v[16:17], s[34:35]
	s_mov_b32 s34, 0x342d06ea
	s_mov_b32 s35, 0xbfb84b70
	s_delay_alu instid0(VALU_DEP_2) | instid1(SALU_CYCLE_1)
	v_add_f64 v[10:11], v[10:11], s[34:35]
	s_mov_b32 s34, 0x1852b7b0
	s_mov_b32 s35, 0x3f56c16c
	s_delay_alu instid0(VALU_DEP_2) | instid1(SALU_CYCLE_1)
	;; [unrolled: 13-line block ×4, first 2 shown]
	v_fma_f64 v[16:17], v[14:15], v[16:17], s[34:35]
	s_mov_b32 s34, 0x9035a22a
	s_mov_b32 s35, 0x3fe5a84e
	s_delay_alu instid0(VALU_DEP_2) | instskip(NEXT) | instid1(VALU_DEP_2)
	v_fma_f64 v[5:6], v[5:6], v[10:11], -v[8:9]
	v_fma_f64 v[10:11], v[14:15], v[16:17], 1.0
	s_delay_alu instid0(VALU_DEP_2) | instskip(NEXT) | instid1(VALU_DEP_2)
	v_add_f64 v[5:6], v[5:6], s[34:35]
	v_fma_f64 v[10:11], v[14:15], v[10:11], 1.0
	s_delay_alu instid0(VALU_DEP_2) | instskip(NEXT) | instid1(VALU_DEP_2)
	v_add_f64 v[5:6], v[5:6], -v[8:9]
	v_ldexp_f64 v[8:9], v[10:11], v12
	s_delay_alu instid0(VALU_DEP_2) | instskip(NEXT) | instid1(VALU_DEP_2)
	v_mul_f64 v[5:6], v[5:6], 0.5
	v_cndmask_b32_e32 v9, 0x7ff00000, v9, vcc_lo
	s_delay_alu instid0(VALU_DEP_3) | instskip(NEXT) | instid1(VALU_DEP_1)
	v_cndmask_b32_e32 v8, 0, v8, vcc_lo
	v_mul_f64 v[5:6], v[8:9], v[5:6]
.LBB7_179:
	s_and_not1_saveexec_b32 s31, s2
	s_cbranch_execz .LBB7_181
; %bb.180:
	v_div_scale_f64 v[5:6], null, v[1:2], v[1:2], 0x40400000
	v_div_scale_f64 v[12:13], vcc_lo, 0x40400000, v[1:2], 0x40400000
	s_mov_b32 s34, 0x66119130
	s_mov_b32 s35, 0xbc5646da
	;; [unrolled: 1-line block ×4, first 2 shown]
	v_cmp_nlt_f64_e64 s2, 0x40900000, v[1:2]
	s_delay_alu instid0(VALU_DEP_3) | instskip(SKIP_2) | instid1(VALU_DEP_1)
	v_rcp_f64_e32 v[8:9], v[5:6]
	s_waitcnt_depctr 0xfff
	v_fma_f64 v[10:11], -v[5:6], v[8:9], 1.0
	v_fma_f64 v[8:9], v[8:9], v[10:11], v[8:9]
	s_delay_alu instid0(VALU_DEP_1) | instskip(NEXT) | instid1(VALU_DEP_1)
	v_fma_f64 v[10:11], -v[5:6], v[8:9], 1.0
	v_fma_f64 v[8:9], v[8:9], v[10:11], v[8:9]
	s_delay_alu instid0(VALU_DEP_1) | instskip(NEXT) | instid1(VALU_DEP_1)
	v_mul_f64 v[10:11], v[12:13], v[8:9]
	v_fma_f64 v[5:6], -v[5:6], v[10:11], v[12:13]
	s_delay_alu instid0(VALU_DEP_1) | instskip(SKIP_1) | instid1(VALU_DEP_2)
	v_div_fmas_f64 v[5:6], v[5:6], v[8:9], v[10:11]
	v_cmp_gt_f64_e32 vcc_lo, 0x10000000, v[1:2]
	v_div_fixup_f64 v[5:6], v[5:6], v[1:2], 0x40400000
	v_cndmask_b32_e64 v18, 0, 1, vcc_lo
	s_delay_alu instid0(VALU_DEP_1) | instskip(NEXT) | instid1(VALU_DEP_1)
	v_lshlrev_b32_e32 v18, 8, v18
	v_ldexp_f64 v[18:19], v[1:2], v18
	s_delay_alu instid0(VALU_DEP_4) | instskip(NEXT) | instid1(VALU_DEP_2)
	v_add_f64 v[5:6], v[5:6], -2.0
	v_rsq_f64_e32 v[20:21], v[18:19]
	s_delay_alu instid0(VALU_DEP_1)
	v_fma_f64 v[8:9], v[5:6], s[36:37], s[34:35]
	s_mov_b32 s37, 0x3c60adb7
	s_mov_b32 s34, 0x12d98421
	;; [unrolled: 1-line block ×3, first 2 shown]
	s_waitcnt_depctr 0xfff
	v_mul_f64 v[22:23], v[18:19], v[20:21]
	v_mul_f64 v[20:21], v[20:21], 0.5
	v_fma_f64 v[10:11], v[5:6], v[8:9], s[36:37]
	s_mov_b32 s36, 0x6a5dcb37
	s_mov_b32 s37, 0x3e5ade15
	s_delay_alu instid0(VALU_DEP_2) | instskip(NEXT) | instid1(VALU_DEP_2)
	v_fma_f64 v[24:25], -v[20:21], v[22:23], 0.5
	v_add_f64 v[10:11], v[10:11], s[34:35]
	s_mov_b32 s34, 0x76041cd
	s_mov_b32 s35, 0x3c83f3dd
	s_delay_alu instid0(VALU_DEP_2) | instskip(SKIP_1) | instid1(VALU_DEP_3)
	v_fma_f64 v[22:23], v[22:23], v[24:25], v[22:23]
	v_fma_f64 v[20:21], v[20:21], v[24:25], v[20:21]
	v_fma_f64 v[8:9], v[5:6], v[10:11], -v[8:9]
	s_delay_alu instid0(VALU_DEP_3) | instskip(NEXT) | instid1(VALU_DEP_2)
	v_fma_f64 v[24:25], -v[22:23], v[22:23], v[18:19]
	v_add_f64 v[8:9], v[8:9], s[34:35]
	s_mov_b32 s34, 0xabd21fe4
	s_mov_b32 s35, 0xbcb4600b
	s_delay_alu instid0(VALU_DEP_1) | instskip(NEXT) | instid1(VALU_DEP_1)
	v_fma_f64 v[10:11], v[5:6], v[8:9], -v[10:11]
	v_add_f64 v[10:11], v[10:11], s[34:35]
	s_mov_b32 s34, 0xd908de38
	s_mov_b32 s35, 0xbcb8aee7
	s_delay_alu instid0(VALU_DEP_1) | instskip(NEXT) | instid1(VALU_DEP_1)
	v_fma_f64 v[8:9], v[5:6], v[10:11], -v[8:9]
	;; [unrolled: 5-line block ×14, first 2 shown]
	v_add_f64 v[8:9], v[8:9], s[34:35]
	s_mov_b32 s34, 0x652b82fe
	s_mov_b32 s35, 0x3ff71547
	s_delay_alu instid0(SALU_CYCLE_1) | instskip(SKIP_2) | instid1(VALU_DEP_2)
	v_mul_f64 v[12:13], v[1:2], s[34:35]
	s_mov_b32 s34, 0xa9225b87
	s_mov_b32 s35, 0x3e2d2c64
	v_fma_f64 v[10:11], v[5:6], v[8:9], -v[10:11]
	s_delay_alu instid0(VALU_DEP_2) | instskip(NEXT) | instid1(VALU_DEP_2)
	v_rndne_f64_e32 v[12:13], v[12:13]
	v_add_f64 v[10:11], v[10:11], s[34:35]
	s_mov_b32 s34, 0xfefa39ef
	s_mov_b32 s35, 0xbfe62e42
	s_delay_alu instid0(VALU_DEP_2) | instid1(SALU_CYCLE_1)
	v_fma_f64 v[14:15], v[12:13], s[34:35], v[1:2]
	s_mov_b32 s34, 0x3b39803f
	s_mov_b32 s35, 0xbc7abc9e
	s_delay_alu instid0(VALU_DEP_2) | instskip(NEXT) | instid1(VALU_DEP_2)
	v_fma_f64 v[8:9], v[5:6], v[10:11], -v[8:9]
	v_fma_f64 v[14:15], v[12:13], s[34:35], v[14:15]
	s_mov_b32 s34, 0x80d6d56d
	s_mov_b32 s35, 0x3e585692
	s_delay_alu instid0(VALU_DEP_2) | instid1(SALU_CYCLE_1)
	v_add_f64 v[8:9], v[8:9], s[34:35]
	s_mov_b32 s34, 0xfca7ab0c
	s_mov_b32 s35, 0x3e928af3
	s_delay_alu instid0(VALU_DEP_2) | instid1(SALU_CYCLE_1)
	v_fma_f64 v[16:17], v[14:15], s[36:37], s[34:35]
	s_mov_b32 s34, 0x623fde64
	s_mov_b32 s35, 0x3ec71dee
	s_delay_alu instid0(VALU_DEP_2) | instskip(NEXT) | instid1(VALU_DEP_2)
	v_fma_f64 v[10:11], v[5:6], v[8:9], -v[10:11]
	v_fma_f64 v[16:17], v[14:15], v[16:17], s[34:35]
	s_mov_b32 s34, 0xd9cd616e
	s_mov_b32 s35, 0x3e8b8007
	s_delay_alu instid0(VALU_DEP_2) | instid1(SALU_CYCLE_1)
	;; [unrolled: 13-line block ×5, first 2 shown]
	v_add_f64 v[8:9], v[8:9], s[34:35]
	s_mov_b32 s34, 11
	s_mov_b32 s35, 0x3fe00000
	s_delay_alu instid0(VALU_DEP_2) | instid1(SALU_CYCLE_1)
	v_fma_f64 v[16:17], v[14:15], v[16:17], s[34:35]
	s_mov_b32 s34, 0xaca809cb
	s_mov_b32 s35, 0x3fe9be62
	s_delay_alu instid0(VALU_DEP_2) | instskip(SKIP_2) | instid1(VALU_DEP_4)
	v_fma_f64 v[5:6], v[5:6], v[8:9], -v[10:11]
	v_fma_f64 v[8:9], v[24:25], v[20:21], v[22:23]
	v_cvt_i32_f64_e32 v22, v[12:13]
	v_fma_f64 v[16:17], v[14:15], v[16:17], 1.0
	s_delay_alu instid0(VALU_DEP_4) | instskip(NEXT) | instid1(VALU_DEP_4)
	v_add_f64 v[5:6], v[5:6], s[34:35]
	v_fma_f64 v[12:13], -v[8:9], v[8:9], v[18:19]
	s_delay_alu instid0(VALU_DEP_3) | instskip(NEXT) | instid1(VALU_DEP_3)
	v_fma_f64 v[14:15], v[14:15], v[16:17], 1.0
	v_add_f64 v[5:6], v[5:6], -v[10:11]
	s_delay_alu instid0(VALU_DEP_3) | instskip(SKIP_4) | instid1(VALU_DEP_4)
	v_fma_f64 v[8:9], v[12:13], v[20:21], v[8:9]
	v_cndmask_b32_e64 v12, 0, 0xffffff80, vcc_lo
	v_cmp_class_f64_e64 vcc_lo, v[18:19], 0x260
	v_ldexp_f64 v[10:11], v[14:15], v22
	v_mul_f64 v[5:6], v[5:6], 0.5
	v_ldexp_f64 v[8:9], v[8:9], v12
	s_delay_alu instid0(VALU_DEP_3) | instskip(NEXT) | instid1(VALU_DEP_4)
	v_cndmask_b32_e64 v11, 0x7ff00000, v11, s2
	v_cndmask_b32_e64 v10, 0, v10, s2
	s_delay_alu instid0(VALU_DEP_1) | instskip(NEXT) | instid1(VALU_DEP_4)
	v_mul_f64 v[5:6], v[10:11], v[5:6]
	v_dual_cndmask_b32 v9, v9, v19 :: v_dual_cndmask_b32 v8, v8, v18
	s_delay_alu instid0(VALU_DEP_1) | instskip(NEXT) | instid1(VALU_DEP_1)
	v_div_scale_f64 v[10:11], null, v[8:9], v[8:9], v[5:6]
	v_rcp_f64_e32 v[12:13], v[10:11]
	s_waitcnt_depctr 0xfff
	v_fma_f64 v[14:15], -v[10:11], v[12:13], 1.0
	s_delay_alu instid0(VALU_DEP_1) | instskip(NEXT) | instid1(VALU_DEP_1)
	v_fma_f64 v[12:13], v[12:13], v[14:15], v[12:13]
	v_fma_f64 v[14:15], -v[10:11], v[12:13], 1.0
	s_delay_alu instid0(VALU_DEP_1) | instskip(SKIP_1) | instid1(VALU_DEP_1)
	v_fma_f64 v[12:13], v[12:13], v[14:15], v[12:13]
	v_div_scale_f64 v[14:15], vcc_lo, v[5:6], v[8:9], v[5:6]
	v_mul_f64 v[16:17], v[14:15], v[12:13]
	s_delay_alu instid0(VALU_DEP_1) | instskip(NEXT) | instid1(VALU_DEP_1)
	v_fma_f64 v[10:11], -v[10:11], v[16:17], v[14:15]
	v_div_fmas_f64 v[10:11], v[10:11], v[12:13], v[16:17]
	s_delay_alu instid0(VALU_DEP_1)
	v_div_fixup_f64 v[5:6], v[10:11], v[8:9], v[5:6]
.LBB7_181:
	s_or_b32 exec_lo, exec_lo, s31
	s_delay_alu instid0(VALU_DEP_2)
	v_frexp_mant_f64_e32 v[8:9], v[3:4]
	s_mov_b32 s35, 0x3fe55555
	s_mov_b32 s34, 0x55555555
	v_mov_b32_e32 v10, 0
	s_mov_b32 s36, 0x6b47b09a
	s_mov_b32 s38, 0xbf559e2b
	;; [unrolled: 1-line block ×4, first 2 shown]
	v_fma_f64 v[1:2], v[1:2], v[1:2], -2.0
	s_delay_alu instid0(VALU_DEP_3) | instskip(SKIP_2) | instid1(VALU_DEP_1)
	v_cmp_gt_f64_e32 vcc_lo, s[34:35], v[8:9]
	s_mov_b32 s34, 0x55555780
	v_cndmask_b32_e64 v11, 0x3ff00000, 2.0, vcc_lo
	v_mul_f64 v[8:9], v[8:9], v[10:11]
	s_delay_alu instid0(VALU_DEP_1) | instskip(SKIP_1) | instid1(VALU_DEP_2)
	v_add_f64 v[10:11], v[8:9], 1.0
	v_add_f64 v[16:17], v[8:9], -1.0
	v_rcp_f64_e32 v[12:13], v[10:11]
	v_add_f64 v[18:19], v[10:11], -1.0
	s_delay_alu instid0(VALU_DEP_1) | instskip(SKIP_2) | instid1(VALU_DEP_1)
	v_add_f64 v[8:9], v[8:9], -v[18:19]
	s_waitcnt_depctr 0xfff
	v_fma_f64 v[14:15], -v[10:11], v[12:13], 1.0
	v_fma_f64 v[12:13], v[14:15], v[12:13], v[12:13]
	s_delay_alu instid0(VALU_DEP_1) | instskip(NEXT) | instid1(VALU_DEP_1)
	v_fma_f64 v[14:15], -v[10:11], v[12:13], 1.0
	v_fma_f64 v[12:13], v[14:15], v[12:13], v[12:13]
	s_delay_alu instid0(VALU_DEP_1) | instskip(NEXT) | instid1(VALU_DEP_1)
	v_mul_f64 v[14:15], v[16:17], v[12:13]
	v_mul_f64 v[20:21], v[10:11], v[14:15]
	s_delay_alu instid0(VALU_DEP_1) | instskip(NEXT) | instid1(VALU_DEP_1)
	v_fma_f64 v[10:11], v[14:15], v[10:11], -v[20:21]
	v_fma_f64 v[8:9], v[14:15], v[8:9], v[10:11]
	s_delay_alu instid0(VALU_DEP_1) | instskip(NEXT) | instid1(VALU_DEP_1)
	v_add_f64 v[10:11], v[20:21], v[8:9]
	v_add_f64 v[18:19], v[16:17], -v[10:11]
	v_add_f64 v[20:21], v[10:11], -v[20:21]
	s_delay_alu instid0(VALU_DEP_2) | instskip(NEXT) | instid1(VALU_DEP_2)
	v_add_f64 v[16:17], v[16:17], -v[18:19]
	v_add_f64 v[8:9], v[20:21], -v[8:9]
	v_frexp_exp_i32_f64_e32 v20, v[3:4]
	s_delay_alu instid0(VALU_DEP_3) | instskip(NEXT) | instid1(VALU_DEP_1)
	v_add_f64 v[10:11], v[16:17], -v[10:11]
	v_add_f64 v[8:9], v[8:9], v[10:11]
	s_delay_alu instid0(VALU_DEP_1) | instskip(NEXT) | instid1(VALU_DEP_1)
	v_add_f64 v[8:9], v[18:19], v[8:9]
	v_mul_f64 v[8:9], v[12:13], v[8:9]
	s_delay_alu instid0(VALU_DEP_1) | instskip(NEXT) | instid1(VALU_DEP_1)
	v_add_f64 v[10:11], v[14:15], v[8:9]
	v_mul_f64 v[12:13], v[10:11], v[10:11]
	s_delay_alu instid0(VALU_DEP_1) | instskip(SKIP_3) | instid1(VALU_DEP_2)
	v_fma_f64 v[16:17], v[12:13], s[38:39], s[36:37]
	s_mov_b32 s36, 0xd7f4df2e
	s_mov_b32 s37, 0x3fc7474d
	v_mul_f64 v[18:19], v[10:11], v[12:13]
	v_fma_f64 v[16:17], v[12:13], v[16:17], s[36:37]
	s_mov_b32 s36, 0x16291751
	s_mov_b32 s37, 0x3fcc71c0
	s_delay_alu instid0(VALU_DEP_1) | instid1(SALU_CYCLE_1)
	v_fma_f64 v[16:17], v[12:13], v[16:17], s[36:37]
	s_mov_b32 s36, 0x9b27acf1
	s_mov_b32 s37, 0x3fd24924
	s_delay_alu instid0(VALU_DEP_1) | instid1(SALU_CYCLE_1)
	;; [unrolled: 4-line block ×3, first 2 shown]
	v_fma_f64 v[16:17], v[12:13], v[16:17], s[36:37]
	s_mov_b32 s37, 0x3ca3cee1
	s_mov_b32 s36, 0xe6a7fd77
	s_delay_alu instid0(VALU_DEP_1) | instskip(SKIP_4) | instid1(VALU_DEP_3)
	v_fma_f64 v[12:13], v[12:13], v[16:17], s[34:35]
	v_ldexp_f64 v[16:17], v[10:11], 1
	v_add_f64 v[10:11], v[10:11], -v[14:15]
	s_mov_b32 s34, 0xc384c2aa
	s_mov_b32 s35, 0x3d27fb0a
	v_mul_f64 v[12:13], v[18:19], v[12:13]
	v_subrev_co_ci_u32_e32 v18, vcc_lo, 0, v20, vcc_lo
	v_fma_f64 v[20:21], v[1:2], s[36:37], s[34:35]
	s_mov_b32 s34, 0xfefa39ef
	s_mov_b32 s35, 0x3fe62e42
	s_delay_alu instid0(VALU_DEP_2) | instskip(SKIP_4) | instid1(VALU_DEP_4)
	v_cvt_f64_i32_e32 v[18:19], v18
	v_add_f64 v[8:9], v[8:9], -v[10:11]
	s_mov_b32 s37, 0xbca3cee1
	v_cmp_eq_f64_e32 vcc_lo, 0x7ff00000, v[3:4]
	v_add_f64 v[14:15], v[16:17], v[12:13]
	v_mul_f64 v[22:23], v[18:19], s[34:35]
	s_delay_alu instid0(VALU_DEP_4) | instskip(NEXT) | instid1(VALU_DEP_3)
	v_ldexp_f64 v[8:9], v[8:9], 1
	v_add_f64 v[10:11], v[14:15], -v[16:17]
	v_fma_f64 v[16:17], v[1:2], v[20:21], s[36:37]
	s_delay_alu instid0(VALU_DEP_4) | instskip(SKIP_2) | instid1(VALU_DEP_3)
	v_fma_f64 v[24:25], v[18:19], s[34:35], -v[22:23]
	s_mov_b32 s34, 0x47512144
	s_mov_b32 s35, 0x3da6c25c
	v_add_f64 v[10:11], v[12:13], -v[10:11]
	s_delay_alu instid0(VALU_DEP_3)
	v_add_f64 v[12:13], v[16:17], s[34:35]
	s_mov_b32 s34, 0x3b39803f
	s_mov_b32 s35, 0x3c7abc9e
	s_delay_alu instid0(VALU_DEP_3) | instid1(SALU_CYCLE_1)
	v_fma_f64 v[16:17], v[18:19], s[34:35], v[24:25]
	s_mov_b32 s34, 0x67e58a13
	s_mov_b32 s35, 0x3e205c13
	s_delay_alu instid0(VALU_DEP_3) | instskip(NEXT) | instid1(VALU_DEP_3)
	v_add_f64 v[8:9], v[8:9], v[10:11]
	v_fma_f64 v[10:11], v[1:2], v[12:13], -v[20:21]
	s_delay_alu instid0(VALU_DEP_3) | instskip(NEXT) | instid1(VALU_DEP_3)
	v_add_f64 v[18:19], v[22:23], v[16:17]
	v_add_f64 v[20:21], v[14:15], v[8:9]
	s_delay_alu instid0(VALU_DEP_3) | instskip(SKIP_2) | instid1(VALU_DEP_3)
	v_add_f64 v[10:11], v[10:11], s[34:35]
	s_mov_b32 s34, 0xe7f95efc
	s_mov_b32 s35, 0x3e9102bc
	v_add_f64 v[22:23], v[18:19], -v[22:23]
	s_delay_alu instid0(VALU_DEP_3) | instskip(NEXT) | instid1(VALU_DEP_3)
	v_add_f64 v[24:25], v[18:19], v[20:21]
	v_fma_f64 v[12:13], v[1:2], v[10:11], -v[12:13]
	v_add_f64 v[14:15], v[20:21], -v[14:15]
	s_delay_alu instid0(VALU_DEP_4) | instskip(NEXT) | instid1(VALU_DEP_4)
	v_add_f64 v[16:17], v[16:17], -v[22:23]
	v_add_f64 v[26:27], v[24:25], -v[18:19]
	s_delay_alu instid0(VALU_DEP_4) | instskip(NEXT) | instid1(VALU_DEP_4)
	v_add_f64 v[12:13], v[12:13], s[34:35]
	v_add_f64 v[8:9], v[8:9], -v[14:15]
	s_mov_b32 s34, 0xfe8cfca0
	s_mov_b32 s35, 0x3ef7f900
	s_delay_alu instid0(VALU_DEP_3) | instskip(NEXT) | instid1(VALU_DEP_3)
	v_add_f64 v[28:29], v[24:25], -v[26:27]
	v_fma_f64 v[10:11], v[1:2], v[12:13], -v[10:11]
	v_add_f64 v[14:15], v[20:21], -v[26:27]
	s_delay_alu instid0(VALU_DEP_4) | instskip(NEXT) | instid1(VALU_DEP_4)
	v_add_f64 v[20:21], v[16:17], v[8:9]
	v_add_f64 v[18:19], v[18:19], -v[28:29]
	s_delay_alu instid0(VALU_DEP_4) | instskip(SKIP_2) | instid1(VALU_DEP_2)
	v_add_f64 v[10:11], v[10:11], s[34:35]
	s_mov_b32 s34, 0x75633d73
	s_mov_b32 s35, 0x3f54b82e
	v_add_f64 v[14:15], v[14:15], v[18:19]
	s_delay_alu instid0(VALU_DEP_2) | instskip(SKIP_1) | instid1(VALU_DEP_3)
	v_fma_f64 v[12:13], v[1:2], v[10:11], -v[12:13]
	v_add_f64 v[18:19], v[20:21], -v[16:17]
	v_add_f64 v[14:15], v[20:21], v[14:15]
	s_delay_alu instid0(VALU_DEP_3) | instskip(NEXT) | instid1(VALU_DEP_3)
	v_add_f64 v[12:13], v[12:13], s[34:35]
	v_add_f64 v[20:21], v[20:21], -v[18:19]
	v_add_f64 v[8:9], v[8:9], -v[18:19]
	s_mov_b32 s34, 0x554a9085
	s_mov_b32 s35, 0x3fa26bf6
	s_delay_alu instid0(VALU_DEP_4) | instskip(NEXT) | instid1(VALU_DEP_4)
	v_add_f64 v[22:23], v[24:25], v[14:15]
	v_fma_f64 v[10:11], v[1:2], v[12:13], -v[10:11]
	s_delay_alu instid0(VALU_DEP_4) | instskip(NEXT) | instid1(VALU_DEP_3)
	v_add_f64 v[16:17], v[16:17], -v[20:21]
	v_add_f64 v[18:19], v[22:23], -v[24:25]
	s_delay_alu instid0(VALU_DEP_3) | instskip(NEXT) | instid1(VALU_DEP_3)
	v_add_f64 v[10:11], v[10:11], s[34:35]
	v_add_f64 v[8:9], v[8:9], v[16:17]
	s_mov_b32 s34, 0x81213db9
	s_mov_b32 s35, 0x3fd608d8
	s_delay_alu instid0(VALU_DEP_3) | instskip(NEXT) | instid1(VALU_DEP_3)
	v_add_f64 v[14:15], v[14:15], -v[18:19]
	v_fma_f64 v[12:13], v[1:2], v[10:11], -v[12:13]
	s_delay_alu instid0(VALU_DEP_2) | instskip(NEXT) | instid1(VALU_DEP_2)
	v_add_f64 v[8:9], v[8:9], v[14:15]
	v_add_f64 v[12:13], v[12:13], s[34:35]
	s_mov_b32 s34, 0xe9d2f61f
	s_mov_b32 s35, 0xbfe12166
	s_delay_alu instid0(VALU_DEP_2) | instskip(NEXT) | instid1(VALU_DEP_2)
	v_add_f64 v[8:9], v[22:23], v[8:9]
	v_fma_f64 v[1:2], v[1:2], v[12:13], -v[10:11]
	s_delay_alu instid0(VALU_DEP_2) | instskip(SKIP_1) | instid1(VALU_DEP_3)
	v_dual_cndmask_b32 v9, v9, v4 :: v_dual_cndmask_b32 v8, v8, v3
	v_cmp_neq_f64_e32 vcc_lo, 0, v[3:4]
	v_add_f64 v[1:2], v[1:2], s[34:35]
	s_delay_alu instid0(VALU_DEP_3) | instskip(NEXT) | instid1(VALU_DEP_4)
	v_cndmask_b32_e32 v4, 0xfff00000, v9, vcc_lo
	v_cndmask_b32_e32 v3, 0, v8, vcc_lo
	s_delay_alu instid0(VALU_DEP_3) | instskip(NEXT) | instid1(VALU_DEP_2)
	v_add_f64 v[1:2], v[1:2], -v[10:11]
	v_mul_f64 v[3:4], v[3:4], v[5:6]
	s_delay_alu instid0(VALU_DEP_1)
	v_fma_f64 v[3:4], v[1:2], 0.5, -v[3:4]
                                        ; implicit-def: $vgpr1_vgpr2
.LBB7_182:
	s_and_not1_saveexec_b32 s21, s21
	s_cbranch_execz .LBB7_184
; %bb.183:
	v_div_scale_f64 v[3:4], null, v[1:2], v[1:2], 0x40200000
	v_div_scale_f64 v[10:11], vcc_lo, 0x40200000, v[1:2], 0x40200000
	s_mov_b32 s34, 0x93812603
	s_mov_b32 s35, 0xbc72fecc
	;; [unrolled: 1-line block ×4, first 2 shown]
	v_cmp_nlt_f64_e64 s2, 0x4090cc00, v[1:2]
	s_delay_alu instid0(VALU_DEP_3) | instskip(SKIP_2) | instid1(VALU_DEP_1)
	v_rcp_f64_e32 v[5:6], v[3:4]
	s_waitcnt_depctr 0xfff
	v_fma_f64 v[8:9], -v[3:4], v[5:6], 1.0
	v_fma_f64 v[5:6], v[5:6], v[8:9], v[5:6]
	s_delay_alu instid0(VALU_DEP_1) | instskip(NEXT) | instid1(VALU_DEP_1)
	v_fma_f64 v[8:9], -v[3:4], v[5:6], 1.0
	v_fma_f64 v[5:6], v[5:6], v[8:9], v[5:6]
	s_delay_alu instid0(VALU_DEP_1) | instskip(NEXT) | instid1(VALU_DEP_1)
	v_mul_f64 v[8:9], v[10:11], v[5:6]
	v_fma_f64 v[3:4], -v[3:4], v[8:9], v[10:11]
	s_delay_alu instid0(VALU_DEP_1) | instskip(SKIP_1) | instid1(VALU_DEP_2)
	v_div_fmas_f64 v[3:4], v[3:4], v[5:6], v[8:9]
	v_cmp_gt_f64_e32 vcc_lo, 0x10000000, v[1:2]
	v_div_fixup_f64 v[3:4], v[3:4], v[1:2], 0x40200000
	v_cndmask_b32_e64 v16, 0, 1, vcc_lo
	s_delay_alu instid0(VALU_DEP_1) | instskip(NEXT) | instid1(VALU_DEP_1)
	v_lshlrev_b32_e32 v16, 8, v16
	v_ldexp_f64 v[16:17], v[1:2], v16
	s_delay_alu instid0(VALU_DEP_4) | instskip(NEXT) | instid1(VALU_DEP_2)
	v_add_f64 v[3:4], v[3:4], -2.0
	v_rsq_f64_e32 v[18:19], v[16:17]
	s_delay_alu instid0(VALU_DEP_1)
	v_fma_f64 v[5:6], v[3:4], s[36:37], s[34:35]
	s_mov_b32 s37, 0xbc5871a5
	s_mov_b32 s34, 0x41a8cdf4
	;; [unrolled: 1-line block ×3, first 2 shown]
	s_waitcnt_depctr 0xfff
	v_mul_f64 v[20:21], v[16:17], v[18:19]
	v_mul_f64 v[18:19], v[18:19], 0.5
	v_fma_f64 v[8:9], v[3:4], v[5:6], s[36:37]
	s_mov_b32 s36, 0x6a5dcb37
	s_mov_b32 s37, 0x3e5ade15
	s_delay_alu instid0(VALU_DEP_2) | instskip(NEXT) | instid1(VALU_DEP_2)
	v_fma_f64 v[22:23], -v[18:19], v[20:21], 0.5
	v_add_f64 v[8:9], v[8:9], s[34:35]
	s_mov_b32 s34, 0x74d77641
	s_mov_b32 s35, 0xbca82f94
	s_delay_alu instid0(VALU_DEP_2) | instskip(SKIP_1) | instid1(VALU_DEP_3)
	v_fma_f64 v[20:21], v[20:21], v[22:23], v[20:21]
	v_fma_f64 v[18:19], v[18:19], v[22:23], v[18:19]
	v_fma_f64 v[5:6], v[3:4], v[8:9], -v[5:6]
	s_delay_alu instid0(VALU_DEP_3) | instskip(NEXT) | instid1(VALU_DEP_2)
	v_fma_f64 v[22:23], -v[20:21], v[20:21], v[16:17]
	v_add_f64 v[5:6], v[5:6], s[34:35]
	s_mov_b32 s34, 0x6b94785b
	s_mov_b32 s35, 0x3cc3dbf9
	s_delay_alu instid0(VALU_DEP_1) | instskip(NEXT) | instid1(VALU_DEP_1)
	v_fma_f64 v[8:9], v[3:4], v[5:6], -v[8:9]
	v_add_f64 v[8:9], v[8:9], s[34:35]
	s_mov_b32 s34, 0xecfadd36
	s_mov_b32 s35, 0xbce0a690
	s_delay_alu instid0(VALU_DEP_1) | instskip(NEXT) | instid1(VALU_DEP_1)
	v_fma_f64 v[5:6], v[3:4], v[8:9], -v[5:6]
	;; [unrolled: 5-line block ×14, first 2 shown]
	v_add_f64 v[5:6], v[5:6], s[34:35]
	s_mov_b32 s34, 0x652b82fe
	s_mov_b32 s35, 0xbff71547
	s_delay_alu instid0(SALU_CYCLE_1) | instskip(SKIP_2) | instid1(VALU_DEP_2)
	v_mul_f64 v[10:11], v[1:2], s[34:35]
	s_mov_b32 s34, 0x81e3e46f
	s_mov_b32 s35, 0x3e929159
	v_fma_f64 v[8:9], v[3:4], v[5:6], -v[8:9]
	s_delay_alu instid0(VALU_DEP_2) | instskip(NEXT) | instid1(VALU_DEP_2)
	v_rndne_f64_e32 v[10:11], v[10:11]
	v_add_f64 v[8:9], v[8:9], s[34:35]
	s_mov_b32 s34, 0xfefa39ef
	s_mov_b32 s35, 0xbfe62e42
	s_delay_alu instid0(VALU_DEP_2) | instid1(SALU_CYCLE_1)
	v_fma_f64 v[12:13], v[10:11], s[34:35], -v[1:2]
	s_mov_b32 s34, 0x3b39803f
	s_mov_b32 s35, 0xbc7abc9e
	s_delay_alu instid0(VALU_DEP_2) | instskip(NEXT) | instid1(VALU_DEP_2)
	v_fma_f64 v[5:6], v[3:4], v[8:9], -v[5:6]
	v_fma_f64 v[12:13], v[10:11], s[34:35], v[12:13]
	s_mov_b32 s34, 0x7f18d3a9
	s_mov_b32 s35, 0xbebebb54
	s_delay_alu instid0(VALU_DEP_2) | instid1(SALU_CYCLE_1)
	v_add_f64 v[5:6], v[5:6], s[34:35]
	s_mov_b32 s34, 0xfca7ab0c
	s_mov_b32 s35, 0x3e928af3
	s_delay_alu instid0(VALU_DEP_2) | instid1(SALU_CYCLE_1)
	v_fma_f64 v[14:15], v[12:13], s[36:37], s[34:35]
	s_mov_b32 s34, 0x623fde64
	s_mov_b32 s35, 0x3ec71dee
	s_delay_alu instid0(VALU_DEP_2) | instskip(NEXT) | instid1(VALU_DEP_2)
	v_fma_f64 v[8:9], v[3:4], v[5:6], -v[8:9]
	v_fma_f64 v[14:15], v[12:13], v[14:15], s[34:35]
	s_mov_b32 s34, 0xcc7470a9
	s_mov_b32 s35, 0x3eed413f
	s_delay_alu instid0(VALU_DEP_2) | instid1(SALU_CYCLE_1)
	v_add_f64 v[8:9], v[8:9], s[34:35]
	s_mov_b32 s34, 0x7c89e6b0
	s_mov_b32 s35, 0x3efa0199
	s_delay_alu instid0(VALU_DEP_2) | instid1(SALU_CYCLE_1)
	v_fma_f64 v[14:15], v[12:13], v[14:15], s[34:35]
	;; [unrolled: 13-line block ×5, first 2 shown]
	s_mov_b32 s34, 0x9f4e6907
	s_mov_b32 s35, 0x400385bd
	s_delay_alu instid0(VALU_DEP_2) | instskip(SKIP_2) | instid1(VALU_DEP_4)
	v_fma_f64 v[3:4], v[3:4], v[5:6], -v[8:9]
	v_fma_f64 v[5:6], v[22:23], v[18:19], v[20:21]
	v_cvt_i32_f64_e32 v20, v[10:11]
	v_fma_f64 v[14:15], v[12:13], v[14:15], 1.0
	s_delay_alu instid0(VALU_DEP_4) | instskip(NEXT) | instid1(VALU_DEP_4)
	v_add_f64 v[3:4], v[3:4], s[34:35]
	v_fma_f64 v[10:11], -v[5:6], v[5:6], v[16:17]
	s_delay_alu instid0(VALU_DEP_3) | instskip(NEXT) | instid1(VALU_DEP_3)
	v_fma_f64 v[12:13], v[12:13], v[14:15], 1.0
	v_add_f64 v[3:4], v[3:4], -v[8:9]
	s_delay_alu instid0(VALU_DEP_3) | instskip(NEXT) | instid1(VALU_DEP_3)
	v_fma_f64 v[5:6], v[10:11], v[18:19], v[5:6]
	v_ldexp_f64 v[8:9], v[12:13], v20
	s_delay_alu instid0(VALU_DEP_3) | instskip(SKIP_2) | instid1(VALU_DEP_2)
	v_mul_f64 v[1:2], v[3:4], 0.5
	v_cndmask_b32_e64 v3, 0, 0xffffff80, vcc_lo
	v_cmp_class_f64_e64 vcc_lo, v[16:17], 0x260
	v_ldexp_f64 v[3:4], v[5:6], v3
	v_cndmask_b32_e64 v6, 0, v9, s2
	v_cndmask_b32_e64 v5, 0, v8, s2
	s_delay_alu instid0(VALU_DEP_1) | instskip(NEXT) | instid1(VALU_DEP_4)
	v_mul_f64 v[1:2], v[5:6], v[1:2]
	v_dual_cndmask_b32 v4, v4, v17 :: v_dual_cndmask_b32 v3, v3, v16
	s_delay_alu instid0(VALU_DEP_1) | instskip(NEXT) | instid1(VALU_DEP_1)
	v_div_scale_f64 v[5:6], null, v[3:4], v[3:4], v[1:2]
	v_rcp_f64_e32 v[8:9], v[5:6]
	s_waitcnt_depctr 0xfff
	v_fma_f64 v[10:11], -v[5:6], v[8:9], 1.0
	s_delay_alu instid0(VALU_DEP_1) | instskip(NEXT) | instid1(VALU_DEP_1)
	v_fma_f64 v[8:9], v[8:9], v[10:11], v[8:9]
	v_fma_f64 v[10:11], -v[5:6], v[8:9], 1.0
	s_delay_alu instid0(VALU_DEP_1) | instskip(SKIP_1) | instid1(VALU_DEP_1)
	v_fma_f64 v[8:9], v[8:9], v[10:11], v[8:9]
	v_div_scale_f64 v[10:11], vcc_lo, v[1:2], v[3:4], v[1:2]
	v_mul_f64 v[12:13], v[10:11], v[8:9]
	s_delay_alu instid0(VALU_DEP_1) | instskip(NEXT) | instid1(VALU_DEP_1)
	v_fma_f64 v[5:6], -v[5:6], v[12:13], v[10:11]
	v_div_fmas_f64 v[5:6], v[5:6], v[8:9], v[12:13]
	s_delay_alu instid0(VALU_DEP_1)
	v_div_fixup_f64 v[3:4], v[5:6], v[3:4], v[1:2]
.LBB7_184:
	s_or_b32 exec_lo, exec_lo, s21
.LBB7_185:
	s_delay_alu instid0(SALU_CYCLE_1)
	s_or_b32 exec_lo, exec_lo, s20
.LBB7_186:
	s_delay_alu instid0(SALU_CYCLE_1) | instskip(SKIP_3) | instid1(SALU_CYCLE_1)
	s_or_b32 exec_lo, exec_lo, s3
	v_add_nc_u32_e32 v7, 0x80, v7
	global_store_b64 v0, v[3:4], s[4:5]
	s_or_b32 exec_lo, exec_lo, s30
	s_mov_b32 s20, exec_lo
	v_cmpx_gt_i32_e64 s27, v7
	s_cbranch_execz .LBB7_165
.LBB7_187:
	s_and_not1_b32 vcc_lo, exec_lo, s24
	s_cbranch_vccnz .LBB7_192
; %bb.188:
	v_dual_mov_b32 v0, 0 :: v_dual_mov_b32 v1, 0
	s_and_not1_b32 vcc_lo, exec_lo, s29
	s_mov_b32 s21, 0
	s_cbranch_vccnz .LBB7_197
; %bb.189:
	v_mov_b32_e32 v0, 0
	s_add_i32 s28, s28, 1
	s_cmp_eq_u32 s23, 2
	s_mov_b32 s27, 0
	s_cbranch_scc1 .LBB7_193
; %bb.190:
	v_dual_mov_b32 v1, 0 :: v_dual_mov_b32 v0, 0
	v_mov_b32_e32 v2, v7
	s_and_b32 s27, s28, 28
	s_mov_b32 s29, 0
	s_mov_b64 s[2:3], s[0:1]
.LBB7_191:                              ; =>This Inner Loop Header: Depth=1
	s_clause 0x1
	s_load_b256 s[36:43], s[2:3], 0x4
	s_load_b128 s[52:55], s[2:3], 0x24
	s_load_b256 s[44:51], s[18:19], 0x0
	s_add_u32 s2, s2, 48
	s_addc_u32 s3, s3, 0
	s_add_i32 s29, s29, 4
	s_add_u32 s18, s18, 32
	s_addc_u32 s19, s19, 0
	s_cmp_eq_u32 s27, s29
	s_waitcnt lgkmcnt(0)
	v_mul_hi_u32 v3, s37, v2
	s_delay_alu instid0(VALU_DEP_1) | instskip(NEXT) | instid1(VALU_DEP_1)
	v_add_nc_u32_e32 v3, v2, v3
	v_lshrrev_b32_e32 v3, s38, v3
	s_delay_alu instid0(VALU_DEP_1) | instskip(SKIP_1) | instid1(VALU_DEP_2)
	v_mul_hi_u32 v4, s40, v3
	v_mul_lo_u32 v6, v3, s36
	v_add_nc_u32_e32 v4, v3, v4
	s_delay_alu instid0(VALU_DEP_2) | instskip(NEXT) | instid1(VALU_DEP_2)
	v_sub_nc_u32_e32 v2, v2, v6
	v_lshrrev_b32_e32 v4, s41, v4
	s_delay_alu instid0(VALU_DEP_2) | instskip(SKIP_1) | instid1(VALU_DEP_3)
	v_mul_lo_u32 v6, v2, s44
	v_mul_lo_u32 v9, v2, s45
	v_mul_hi_u32 v5, s43, v4
	s_delay_alu instid0(VALU_DEP_1) | instskip(NEXT) | instid1(VALU_DEP_1)
	v_add_nc_u32_e32 v5, v4, v5
	v_lshrrev_b32_e32 v5, s52, v5
	s_delay_alu instid0(VALU_DEP_1) | instskip(SKIP_1) | instid1(VALU_DEP_2)
	v_mul_hi_u32 v8, s54, v5
	v_mul_lo_u32 v10, v5, s42
	v_add_nc_u32_e32 v2, v5, v8
	v_mul_lo_u32 v8, v4, s39
	s_delay_alu instid0(VALU_DEP_3) | instskip(NEXT) | instid1(VALU_DEP_3)
	v_sub_nc_u32_e32 v4, v4, v10
	v_lshrrev_b32_e32 v2, s55, v2
	s_delay_alu instid0(VALU_DEP_2) | instskip(SKIP_2) | instid1(VALU_DEP_4)
	v_mul_lo_u32 v10, v4, s48
	v_mul_lo_u32 v4, v4, s49
	v_sub_nc_u32_e32 v3, v3, v8
	v_mul_lo_u32 v11, v2, s53
	s_delay_alu instid0(VALU_DEP_2) | instskip(SKIP_1) | instid1(VALU_DEP_3)
	v_mul_lo_u32 v8, v3, s46
	v_mul_lo_u32 v3, v3, s47
	v_sub_nc_u32_e32 v5, v5, v11
	s_delay_alu instid0(VALU_DEP_3) | instskip(NEXT) | instid1(VALU_DEP_2)
	v_add3_u32 v0, v6, v0, v8
	v_mul_lo_u32 v11, v5, s50
	v_mul_lo_u32 v5, v5, s51
	v_add3_u32 v1, v9, v1, v3
	s_delay_alu instid0(VALU_DEP_3) | instskip(NEXT) | instid1(VALU_DEP_2)
	v_add3_u32 v0, v10, v0, v11
	v_add3_u32 v1, v4, v1, v5
	s_cbranch_scc0 .LBB7_191
	s_branch .LBB7_194
.LBB7_192:
	s_mov_b32 s21, -1
                                        ; implicit-def: $vgpr0
                                        ; implicit-def: $vgpr1
	s_branch .LBB7_197
.LBB7_193:
	v_dual_mov_b32 v2, v7 :: v_dual_mov_b32 v1, 0
.LBB7_194:
	s_and_b32 s28, s28, 3
	s_delay_alu instid0(SALU_CYCLE_1)
	s_cmp_eq_u32 s28, 0
	s_cbranch_scc1 .LBB7_197
; %bb.195:
	s_lshl_b32 s2, s27, 3
	s_mul_i32 s18, s27, 12
	s_add_u32 s2, s2, s0
	s_addc_u32 s3, s1, 0
	s_add_u32 s2, s2, 0xc4
	s_addc_u32 s3, s3, 0
	s_add_u32 s18, s0, s18
	s_addc_u32 s19, s1, 0
	.p2align	6
.LBB7_196:                              ; =>This Inner Loop Header: Depth=1
	s_clause 0x1
	s_load_b64 s[30:31], s[18:19], 0x4
	s_load_b32 s27, s[18:19], 0xc
	s_load_b64 s[34:35], s[2:3], 0x0
	s_add_u32 s18, s18, 12
	s_addc_u32 s19, s19, 0
	s_add_u32 s2, s2, 8
	s_addc_u32 s3, s3, 0
	s_add_i32 s28, s28, -1
	s_delay_alu instid0(SALU_CYCLE_1) | instskip(SKIP_2) | instid1(VALU_DEP_1)
	s_cmp_lg_u32 s28, 0
	s_waitcnt lgkmcnt(0)
	v_mul_hi_u32 v3, s31, v2
	v_add_nc_u32_e32 v3, v2, v3
	s_delay_alu instid0(VALU_DEP_1) | instskip(NEXT) | instid1(VALU_DEP_1)
	v_lshrrev_b32_e32 v6, s27, v3
	v_mul_lo_u32 v3, v6, s30
	s_delay_alu instid0(VALU_DEP_1) | instskip(NEXT) | instid1(VALU_DEP_1)
	v_sub_nc_u32_e32 v2, v2, v3
	v_mad_u64_u32 v[3:4], null, v2, s34, v[0:1]
	v_mad_u64_u32 v[4:5], null, v2, s35, v[1:2]
	v_mov_b32_e32 v2, v6
	s_delay_alu instid0(VALU_DEP_2)
	v_dual_mov_b32 v0, v3 :: v_dual_mov_b32 v1, v4
	s_cbranch_scc1 .LBB7_196
.LBB7_197:
	s_and_not1_b32 vcc_lo, exec_lo, s21
	s_cbranch_vccnz .LBB7_200
; %bb.198:
	s_waitcnt lgkmcnt(0)
	v_mul_hi_u32 v0, s13, v7
	s_and_not1_b32 vcc_lo, exec_lo, s26
	s_delay_alu instid0(VALU_DEP_1) | instskip(NEXT) | instid1(VALU_DEP_1)
	v_add_nc_u32_e32 v0, v7, v0
	v_lshrrev_b32_e32 v2, s14, v0
	s_delay_alu instid0(VALU_DEP_1) | instskip(NEXT) | instid1(VALU_DEP_1)
	v_mul_lo_u32 v0, v2, s12
	v_sub_nc_u32_e32 v1, v7, v0
	s_delay_alu instid0(VALU_DEP_1)
	v_mul_lo_u32 v0, v1, s8
	v_mul_lo_u32 v1, v1, s9
	s_cbranch_vccnz .LBB7_200
; %bb.199:
	v_mul_hi_u32 v3, s16, v2
	s_delay_alu instid0(VALU_DEP_1) | instskip(NEXT) | instid1(VALU_DEP_1)
	v_add_nc_u32_e32 v3, v2, v3
	v_lshrrev_b32_e32 v3, s17, v3
	s_delay_alu instid0(VALU_DEP_1) | instskip(NEXT) | instid1(VALU_DEP_1)
	v_mul_lo_u32 v3, v3, s15
	v_sub_nc_u32_e32 v5, v2, v3
	s_delay_alu instid0(VALU_DEP_1) | instskip(NEXT) | instid1(VALU_DEP_1)
	v_mad_u64_u32 v[2:3], null, v5, s10, v[0:1]
	v_mad_u64_u32 v[3:4], null, v5, s11, v[1:2]
	s_delay_alu instid0(VALU_DEP_1)
	v_dual_mov_b32 v0, v2 :: v_dual_mov_b32 v1, v3
.LBB7_200:
	s_waitcnt lgkmcnt(0)
	global_load_b64 v[1:2], v1, s[6:7]
	v_mov_b32_e32 v3, 0
	v_mov_b32_e32 v4, 0x7ff00000
	s_mov_b32 s3, exec_lo
	s_waitcnt vmcnt(0)
	v_cmpx_neq_f64_e32 0, v[1:2]
	s_cbranch_execz .LBB7_212
; %bb.201:
	v_mov_b32_e32 v3, 0
	v_mov_b32_e32 v4, 0x7ff80000
	s_mov_b32 s6, exec_lo
	v_cmpx_ngt_f64_e32 0, v[1:2]
	s_cbranch_execz .LBB7_211
; %bb.202:
                                        ; implicit-def: $vgpr3_vgpr4
	s_mov_b32 s2, exec_lo
	v_cmpx_ge_f64_e32 2.0, v[1:2]
	s_xor_b32 s7, exec_lo, s2
	s_cbranch_execz .LBB7_208
; %bb.203:
	v_mul_f64 v[3:4], v[1:2], 0.5
	s_mov_b32 s2, exec_lo
                                        ; implicit-def: $vgpr5_vgpr6
	v_cmpx_ge_f64_e32 0x40200000, v[1:2]
	s_xor_b32 s2, exec_lo, s2
	s_cbranch_execz .LBB7_205
; %bb.204:
	s_delay_alu instid0(VALU_DEP_2)
	v_add_f64 v[5:6], v[3:4], -2.0
	s_mov_b32 s8, 0x977da589
	s_mov_b32 s9, 0x3c833362
	;; [unrolled: 1-line block ×4, first 2 shown]
	v_cmp_nlt_f64_e32 vcc_lo, 0x40900000, v[1:2]
	s_delay_alu instid0(VALU_DEP_2) | instskip(SKIP_3) | instid1(VALU_DEP_1)
	v_fma_f64 v[7:8], v[5:6], s[10:11], s[8:9]
	s_mov_b32 s11, 0x3c545cb7
	s_mov_b32 s8, 0x721ebbb4
	;; [unrolled: 1-line block ×3, first 2 shown]
	v_fma_f64 v[9:10], v[5:6], v[7:8], s[10:11]
	s_mov_b32 s10, 0x6a5dcb37
	s_mov_b32 s11, 0x3e5ade15
	s_delay_alu instid0(VALU_DEP_1) | instskip(SKIP_2) | instid1(VALU_DEP_1)
	v_add_f64 v[9:10], v[9:10], s[8:9]
	s_mov_b32 s8, 0x93f65eba
	s_mov_b32 s9, 0x3cdee6d8
	v_fma_f64 v[7:8], v[5:6], v[9:10], -v[7:8]
	s_delay_alu instid0(VALU_DEP_1) | instskip(SKIP_2) | instid1(VALU_DEP_1)
	v_add_f64 v[7:8], v[7:8], s[8:9]
	s_mov_b32 s8, 0xc297fbeb
	s_mov_b32 s9, 0xbd0a5022
	v_fma_f64 v[9:10], v[5:6], v[7:8], -v[9:10]
	;; [unrolled: 5-line block ×20, first 2 shown]
	s_delay_alu instid0(VALU_DEP_1) | instskip(SKIP_2) | instid1(SALU_CYCLE_1)
	v_add_f64 v[9:10], v[9:10], s[8:9]
	s_mov_b32 s8, 0x652b82fe
	s_mov_b32 s9, 0x3ff71547
	v_mul_f64 v[11:12], v[1:2], s[8:9]
	s_mov_b32 s8, 0xf3dde3dd
	s_mov_b32 s9, 0x3f859961
	s_delay_alu instid0(VALU_DEP_2) | instskip(NEXT) | instid1(VALU_DEP_2)
	v_fma_f64 v[7:8], v[5:6], v[9:10], -v[7:8]
	v_rndne_f64_e32 v[11:12], v[11:12]
	s_delay_alu instid0(VALU_DEP_2)
	v_add_f64 v[7:8], v[7:8], s[8:9]
	s_mov_b32 s8, 0xfefa39ef
	s_mov_b32 s9, 0xbfe62e42
	s_delay_alu instid0(VALU_DEP_2) | instid1(SALU_CYCLE_1)
	v_fma_f64 v[13:14], v[11:12], s[8:9], v[1:2]
	s_mov_b32 s8, 0x3b39803f
	s_mov_b32 s9, 0xbc7abc9e
	s_delay_alu instid0(VALU_DEP_2) | instskip(NEXT) | instid1(VALU_DEP_2)
	v_fma_f64 v[9:10], v[5:6], v[7:8], -v[9:10]
	v_fma_f64 v[13:14], v[11:12], s[8:9], v[13:14]
	s_mov_b32 s8, 0xf121b6f0
	s_mov_b32 s9, 0xbf984e9e
	v_cvt_i32_f64_e32 v11, v[11:12]
	s_delay_alu instid0(VALU_DEP_3)
	v_add_f64 v[9:10], v[9:10], s[8:9]
	s_mov_b32 s8, 0xfca7ab0c
	s_mov_b32 s9, 0x3e928af3
	s_delay_alu instid0(VALU_DEP_3) | instid1(SALU_CYCLE_1)
	v_fma_f64 v[15:16], v[13:14], s[10:11], s[8:9]
	s_mov_b32 s8, 0x623fde64
	s_mov_b32 s9, 0x3ec71dee
	s_delay_alu instid0(VALU_DEP_2) | instskip(NEXT) | instid1(VALU_DEP_2)
	v_fma_f64 v[7:8], v[5:6], v[9:10], -v[7:8]
	v_fma_f64 v[15:16], v[13:14], v[15:16], s[8:9]
	s_mov_b32 s8, 0xcea8a32d
	s_mov_b32 s9, 0x3fa93e8a
	s_delay_alu instid0(VALU_DEP_2) | instid1(SALU_CYCLE_1)
	v_add_f64 v[7:8], v[7:8], s[8:9]
	s_mov_b32 s8, 0x7c89e6b0
	s_mov_b32 s9, 0x3efa0199
	s_delay_alu instid0(VALU_DEP_2) | instid1(SALU_CYCLE_1)
	v_fma_f64 v[15:16], v[13:14], v[15:16], s[8:9]
	s_mov_b32 s8, 0x14761f6e
	s_mov_b32 s9, 0x3f2a01a0
	s_delay_alu instid0(VALU_DEP_2) | instskip(NEXT) | instid1(VALU_DEP_2)
	v_fma_f64 v[9:10], v[5:6], v[7:8], -v[9:10]
	v_fma_f64 v[15:16], v[13:14], v[15:16], s[8:9]
	s_mov_b32 s8, 0x342d06ea
	s_mov_b32 s9, 0xbfb84b70
	s_delay_alu instid0(VALU_DEP_2) | instid1(SALU_CYCLE_1)
	v_add_f64 v[9:10], v[9:10], s[8:9]
	s_mov_b32 s8, 0x1852b7b0
	s_mov_b32 s9, 0x3f56c16c
	s_delay_alu instid0(VALU_DEP_2) | instid1(SALU_CYCLE_1)
	;; [unrolled: 13-line block ×4, first 2 shown]
	v_fma_f64 v[15:16], v[13:14], v[15:16], s[8:9]
	s_mov_b32 s8, 0x9035a22a
	s_mov_b32 s9, 0x3fe5a84e
	s_delay_alu instid0(VALU_DEP_2) | instskip(NEXT) | instid1(VALU_DEP_2)
	v_fma_f64 v[5:6], v[5:6], v[9:10], -v[7:8]
	v_fma_f64 v[9:10], v[13:14], v[15:16], 1.0
	s_delay_alu instid0(VALU_DEP_2) | instskip(NEXT) | instid1(VALU_DEP_2)
	v_add_f64 v[5:6], v[5:6], s[8:9]
	v_fma_f64 v[9:10], v[13:14], v[9:10], 1.0
	s_delay_alu instid0(VALU_DEP_2) | instskip(NEXT) | instid1(VALU_DEP_2)
	v_add_f64 v[5:6], v[5:6], -v[7:8]
	v_ldexp_f64 v[7:8], v[9:10], v11
	s_delay_alu instid0(VALU_DEP_2) | instskip(NEXT) | instid1(VALU_DEP_2)
	v_mul_f64 v[5:6], v[5:6], 0.5
	v_cndmask_b32_e32 v8, 0x7ff00000, v8, vcc_lo
	s_delay_alu instid0(VALU_DEP_3) | instskip(NEXT) | instid1(VALU_DEP_1)
	v_cndmask_b32_e32 v7, 0, v7, vcc_lo
	v_mul_f64 v[5:6], v[7:8], v[5:6]
.LBB7_205:
	s_and_not1_saveexec_b32 s8, s2
	s_cbranch_execz .LBB7_207
; %bb.206:
	v_div_scale_f64 v[5:6], null, v[1:2], v[1:2], 0x40400000
	v_div_scale_f64 v[11:12], vcc_lo, 0x40400000, v[1:2], 0x40400000
	s_mov_b32 s10, 0x66119130
	s_mov_b32 s11, 0xbc5646da
	;; [unrolled: 1-line block ×4, first 2 shown]
	v_cmp_nlt_f64_e64 s2, 0x40900000, v[1:2]
	s_delay_alu instid0(VALU_DEP_3) | instskip(SKIP_2) | instid1(VALU_DEP_1)
	v_rcp_f64_e32 v[7:8], v[5:6]
	s_waitcnt_depctr 0xfff
	v_fma_f64 v[9:10], -v[5:6], v[7:8], 1.0
	v_fma_f64 v[7:8], v[7:8], v[9:10], v[7:8]
	s_delay_alu instid0(VALU_DEP_1) | instskip(NEXT) | instid1(VALU_DEP_1)
	v_fma_f64 v[9:10], -v[5:6], v[7:8], 1.0
	v_fma_f64 v[7:8], v[7:8], v[9:10], v[7:8]
	s_delay_alu instid0(VALU_DEP_1) | instskip(NEXT) | instid1(VALU_DEP_1)
	v_mul_f64 v[9:10], v[11:12], v[7:8]
	v_fma_f64 v[5:6], -v[5:6], v[9:10], v[11:12]
	s_delay_alu instid0(VALU_DEP_1) | instskip(SKIP_1) | instid1(VALU_DEP_2)
	v_div_fmas_f64 v[5:6], v[5:6], v[7:8], v[9:10]
	v_cmp_gt_f64_e32 vcc_lo, 0x10000000, v[1:2]
	v_div_fixup_f64 v[5:6], v[5:6], v[1:2], 0x40400000
	v_cndmask_b32_e64 v17, 0, 1, vcc_lo
	s_delay_alu instid0(VALU_DEP_1) | instskip(NEXT) | instid1(VALU_DEP_1)
	v_lshlrev_b32_e32 v17, 8, v17
	v_ldexp_f64 v[17:18], v[1:2], v17
	s_delay_alu instid0(VALU_DEP_4) | instskip(NEXT) | instid1(VALU_DEP_2)
	v_add_f64 v[5:6], v[5:6], -2.0
	v_rsq_f64_e32 v[19:20], v[17:18]
	s_delay_alu instid0(VALU_DEP_1)
	v_fma_f64 v[7:8], v[5:6], s[12:13], s[10:11]
	s_mov_b32 s13, 0x3c60adb7
	s_mov_b32 s10, 0x12d98421
	;; [unrolled: 1-line block ×3, first 2 shown]
	s_waitcnt_depctr 0xfff
	v_mul_f64 v[21:22], v[17:18], v[19:20]
	v_mul_f64 v[19:20], v[19:20], 0.5
	v_fma_f64 v[9:10], v[5:6], v[7:8], s[12:13]
	s_mov_b32 s12, 0x6a5dcb37
	s_mov_b32 s13, 0x3e5ade15
	s_delay_alu instid0(VALU_DEP_2) | instskip(NEXT) | instid1(VALU_DEP_2)
	v_fma_f64 v[23:24], -v[19:20], v[21:22], 0.5
	v_add_f64 v[9:10], v[9:10], s[10:11]
	s_mov_b32 s10, 0x76041cd
	s_mov_b32 s11, 0x3c83f3dd
	s_delay_alu instid0(VALU_DEP_2) | instskip(SKIP_1) | instid1(VALU_DEP_3)
	v_fma_f64 v[21:22], v[21:22], v[23:24], v[21:22]
	v_fma_f64 v[19:20], v[19:20], v[23:24], v[19:20]
	v_fma_f64 v[7:8], v[5:6], v[9:10], -v[7:8]
	s_delay_alu instid0(VALU_DEP_3) | instskip(NEXT) | instid1(VALU_DEP_2)
	v_fma_f64 v[23:24], -v[21:22], v[21:22], v[17:18]
	v_add_f64 v[7:8], v[7:8], s[10:11]
	s_mov_b32 s10, 0xabd21fe4
	s_mov_b32 s11, 0xbcb4600b
	s_delay_alu instid0(VALU_DEP_1) | instskip(NEXT) | instid1(VALU_DEP_1)
	v_fma_f64 v[9:10], v[5:6], v[7:8], -v[9:10]
	v_add_f64 v[9:10], v[9:10], s[10:11]
	s_mov_b32 s10, 0xd908de38
	s_mov_b32 s11, 0xbcb8aee7
	s_delay_alu instid0(VALU_DEP_1) | instskip(NEXT) | instid1(VALU_DEP_1)
	v_fma_f64 v[7:8], v[5:6], v[9:10], -v[7:8]
	;; [unrolled: 5-line block ×14, first 2 shown]
	v_add_f64 v[7:8], v[7:8], s[10:11]
	s_mov_b32 s10, 0x652b82fe
	s_mov_b32 s11, 0x3ff71547
	s_delay_alu instid0(SALU_CYCLE_1) | instskip(SKIP_2) | instid1(VALU_DEP_2)
	v_mul_f64 v[11:12], v[1:2], s[10:11]
	s_mov_b32 s10, 0xa9225b87
	s_mov_b32 s11, 0x3e2d2c64
	v_fma_f64 v[9:10], v[5:6], v[7:8], -v[9:10]
	s_delay_alu instid0(VALU_DEP_2) | instskip(NEXT) | instid1(VALU_DEP_2)
	v_rndne_f64_e32 v[11:12], v[11:12]
	v_add_f64 v[9:10], v[9:10], s[10:11]
	s_mov_b32 s10, 0xfefa39ef
	s_mov_b32 s11, 0xbfe62e42
	s_delay_alu instid0(VALU_DEP_2) | instid1(SALU_CYCLE_1)
	v_fma_f64 v[13:14], v[11:12], s[10:11], v[1:2]
	s_mov_b32 s10, 0x3b39803f
	s_mov_b32 s11, 0xbc7abc9e
	s_delay_alu instid0(VALU_DEP_2) | instskip(NEXT) | instid1(VALU_DEP_2)
	v_fma_f64 v[7:8], v[5:6], v[9:10], -v[7:8]
	v_fma_f64 v[13:14], v[11:12], s[10:11], v[13:14]
	s_mov_b32 s10, 0x80d6d56d
	s_mov_b32 s11, 0x3e585692
	s_delay_alu instid0(VALU_DEP_2) | instid1(SALU_CYCLE_1)
	v_add_f64 v[7:8], v[7:8], s[10:11]
	s_mov_b32 s10, 0xfca7ab0c
	s_mov_b32 s11, 0x3e928af3
	s_delay_alu instid0(VALU_DEP_2) | instid1(SALU_CYCLE_1)
	v_fma_f64 v[15:16], v[13:14], s[12:13], s[10:11]
	s_mov_b32 s10, 0x623fde64
	s_mov_b32 s11, 0x3ec71dee
	s_delay_alu instid0(VALU_DEP_2) | instskip(NEXT) | instid1(VALU_DEP_2)
	v_fma_f64 v[9:10], v[5:6], v[7:8], -v[9:10]
	v_fma_f64 v[15:16], v[13:14], v[15:16], s[10:11]
	s_mov_b32 s10, 0xd9cd616e
	s_mov_b32 s11, 0x3e8b8007
	s_delay_alu instid0(VALU_DEP_2) | instid1(SALU_CYCLE_1)
	;; [unrolled: 13-line block ×5, first 2 shown]
	v_add_f64 v[7:8], v[7:8], s[10:11]
	s_mov_b32 s10, 11
	s_mov_b32 s11, 0x3fe00000
	s_delay_alu instid0(VALU_DEP_2) | instid1(SALU_CYCLE_1)
	v_fma_f64 v[15:16], v[13:14], v[15:16], s[10:11]
	s_mov_b32 s10, 0xaca809cb
	s_mov_b32 s11, 0x3fe9be62
	s_delay_alu instid0(VALU_DEP_2) | instskip(SKIP_2) | instid1(VALU_DEP_4)
	v_fma_f64 v[5:6], v[5:6], v[7:8], -v[9:10]
	v_fma_f64 v[7:8], v[23:24], v[19:20], v[21:22]
	v_cvt_i32_f64_e32 v21, v[11:12]
	v_fma_f64 v[15:16], v[13:14], v[15:16], 1.0
	s_delay_alu instid0(VALU_DEP_4) | instskip(NEXT) | instid1(VALU_DEP_4)
	v_add_f64 v[5:6], v[5:6], s[10:11]
	v_fma_f64 v[11:12], -v[7:8], v[7:8], v[17:18]
	s_delay_alu instid0(VALU_DEP_3) | instskip(NEXT) | instid1(VALU_DEP_3)
	v_fma_f64 v[13:14], v[13:14], v[15:16], 1.0
	v_add_f64 v[5:6], v[5:6], -v[9:10]
	s_delay_alu instid0(VALU_DEP_3) | instskip(SKIP_4) | instid1(VALU_DEP_4)
	v_fma_f64 v[7:8], v[11:12], v[19:20], v[7:8]
	v_cndmask_b32_e64 v11, 0, 0xffffff80, vcc_lo
	v_cmp_class_f64_e64 vcc_lo, v[17:18], 0x260
	v_ldexp_f64 v[9:10], v[13:14], v21
	v_mul_f64 v[5:6], v[5:6], 0.5
	v_ldexp_f64 v[7:8], v[7:8], v11
	s_delay_alu instid0(VALU_DEP_3) | instskip(NEXT) | instid1(VALU_DEP_4)
	v_cndmask_b32_e64 v10, 0x7ff00000, v10, s2
	v_cndmask_b32_e64 v9, 0, v9, s2
	s_delay_alu instid0(VALU_DEP_1) | instskip(NEXT) | instid1(VALU_DEP_4)
	v_mul_f64 v[5:6], v[9:10], v[5:6]
	v_dual_cndmask_b32 v8, v8, v18 :: v_dual_cndmask_b32 v7, v7, v17
	s_delay_alu instid0(VALU_DEP_1) | instskip(NEXT) | instid1(VALU_DEP_1)
	v_div_scale_f64 v[9:10], null, v[7:8], v[7:8], v[5:6]
	v_rcp_f64_e32 v[11:12], v[9:10]
	s_waitcnt_depctr 0xfff
	v_fma_f64 v[13:14], -v[9:10], v[11:12], 1.0
	s_delay_alu instid0(VALU_DEP_1) | instskip(NEXT) | instid1(VALU_DEP_1)
	v_fma_f64 v[11:12], v[11:12], v[13:14], v[11:12]
	v_fma_f64 v[13:14], -v[9:10], v[11:12], 1.0
	s_delay_alu instid0(VALU_DEP_1) | instskip(SKIP_1) | instid1(VALU_DEP_1)
	v_fma_f64 v[11:12], v[11:12], v[13:14], v[11:12]
	v_div_scale_f64 v[13:14], vcc_lo, v[5:6], v[7:8], v[5:6]
	v_mul_f64 v[15:16], v[13:14], v[11:12]
	s_delay_alu instid0(VALU_DEP_1) | instskip(NEXT) | instid1(VALU_DEP_1)
	v_fma_f64 v[9:10], -v[9:10], v[15:16], v[13:14]
	v_div_fmas_f64 v[9:10], v[9:10], v[11:12], v[15:16]
	s_delay_alu instid0(VALU_DEP_1)
	v_div_fixup_f64 v[5:6], v[9:10], v[7:8], v[5:6]
.LBB7_207:
	s_or_b32 exec_lo, exec_lo, s8
	s_delay_alu instid0(VALU_DEP_2)
	v_frexp_mant_f64_e32 v[7:8], v[3:4]
	s_mov_b32 s9, 0x3fe55555
	s_mov_b32 s8, 0x55555555
	v_mov_b32_e32 v9, 0
	s_mov_b32 s10, 0x6b47b09a
	s_mov_b32 s12, 0xbf559e2b
	;; [unrolled: 1-line block ×4, first 2 shown]
	v_fma_f64 v[1:2], v[1:2], v[1:2], -2.0
	s_delay_alu instid0(VALU_DEP_3) | instskip(SKIP_2) | instid1(VALU_DEP_1)
	v_cmp_gt_f64_e32 vcc_lo, s[8:9], v[7:8]
	s_mov_b32 s8, 0x55555780
	v_cndmask_b32_e64 v10, 0x3ff00000, 2.0, vcc_lo
	v_mul_f64 v[7:8], v[7:8], v[9:10]
	s_delay_alu instid0(VALU_DEP_1) | instskip(SKIP_1) | instid1(VALU_DEP_2)
	v_add_f64 v[9:10], v[7:8], 1.0
	v_add_f64 v[15:16], v[7:8], -1.0
	v_rcp_f64_e32 v[11:12], v[9:10]
	v_add_f64 v[17:18], v[9:10], -1.0
	s_delay_alu instid0(VALU_DEP_1) | instskip(SKIP_2) | instid1(VALU_DEP_1)
	v_add_f64 v[7:8], v[7:8], -v[17:18]
	s_waitcnt_depctr 0xfff
	v_fma_f64 v[13:14], -v[9:10], v[11:12], 1.0
	v_fma_f64 v[11:12], v[13:14], v[11:12], v[11:12]
	s_delay_alu instid0(VALU_DEP_1) | instskip(NEXT) | instid1(VALU_DEP_1)
	v_fma_f64 v[13:14], -v[9:10], v[11:12], 1.0
	v_fma_f64 v[11:12], v[13:14], v[11:12], v[11:12]
	s_delay_alu instid0(VALU_DEP_1) | instskip(NEXT) | instid1(VALU_DEP_1)
	v_mul_f64 v[13:14], v[15:16], v[11:12]
	v_mul_f64 v[19:20], v[9:10], v[13:14]
	s_delay_alu instid0(VALU_DEP_1) | instskip(NEXT) | instid1(VALU_DEP_1)
	v_fma_f64 v[9:10], v[13:14], v[9:10], -v[19:20]
	v_fma_f64 v[7:8], v[13:14], v[7:8], v[9:10]
	s_delay_alu instid0(VALU_DEP_1) | instskip(NEXT) | instid1(VALU_DEP_1)
	v_add_f64 v[9:10], v[19:20], v[7:8]
	v_add_f64 v[17:18], v[15:16], -v[9:10]
	v_add_f64 v[19:20], v[9:10], -v[19:20]
	s_delay_alu instid0(VALU_DEP_2) | instskip(NEXT) | instid1(VALU_DEP_2)
	v_add_f64 v[15:16], v[15:16], -v[17:18]
	v_add_f64 v[7:8], v[19:20], -v[7:8]
	v_frexp_exp_i32_f64_e32 v19, v[3:4]
	s_delay_alu instid0(VALU_DEP_3) | instskip(NEXT) | instid1(VALU_DEP_1)
	v_add_f64 v[9:10], v[15:16], -v[9:10]
	v_add_f64 v[7:8], v[7:8], v[9:10]
	s_delay_alu instid0(VALU_DEP_1) | instskip(NEXT) | instid1(VALU_DEP_1)
	v_add_f64 v[7:8], v[17:18], v[7:8]
	v_mul_f64 v[7:8], v[11:12], v[7:8]
	s_delay_alu instid0(VALU_DEP_1) | instskip(NEXT) | instid1(VALU_DEP_1)
	v_add_f64 v[9:10], v[13:14], v[7:8]
	v_mul_f64 v[11:12], v[9:10], v[9:10]
	s_delay_alu instid0(VALU_DEP_1) | instskip(SKIP_3) | instid1(VALU_DEP_2)
	v_fma_f64 v[15:16], v[11:12], s[12:13], s[10:11]
	s_mov_b32 s10, 0xd7f4df2e
	s_mov_b32 s11, 0x3fc7474d
	v_mul_f64 v[17:18], v[9:10], v[11:12]
	v_fma_f64 v[15:16], v[11:12], v[15:16], s[10:11]
	s_mov_b32 s10, 0x16291751
	s_mov_b32 s11, 0x3fcc71c0
	s_delay_alu instid0(VALU_DEP_1) | instid1(SALU_CYCLE_1)
	v_fma_f64 v[15:16], v[11:12], v[15:16], s[10:11]
	s_mov_b32 s10, 0x9b27acf1
	s_mov_b32 s11, 0x3fd24924
	s_delay_alu instid0(VALU_DEP_1) | instid1(SALU_CYCLE_1)
	;; [unrolled: 4-line block ×3, first 2 shown]
	v_fma_f64 v[15:16], v[11:12], v[15:16], s[10:11]
	s_mov_b32 s11, 0x3ca3cee1
	s_mov_b32 s10, 0xe6a7fd77
	s_delay_alu instid0(VALU_DEP_1) | instskip(SKIP_4) | instid1(VALU_DEP_3)
	v_fma_f64 v[11:12], v[11:12], v[15:16], s[8:9]
	v_ldexp_f64 v[15:16], v[9:10], 1
	v_add_f64 v[9:10], v[9:10], -v[13:14]
	s_mov_b32 s8, 0xc384c2aa
	s_mov_b32 s9, 0x3d27fb0a
	v_mul_f64 v[11:12], v[17:18], v[11:12]
	v_subrev_co_ci_u32_e32 v17, vcc_lo, 0, v19, vcc_lo
	v_fma_f64 v[19:20], v[1:2], s[10:11], s[8:9]
	s_mov_b32 s8, 0xfefa39ef
	s_mov_b32 s9, 0x3fe62e42
	s_delay_alu instid0(VALU_DEP_2) | instskip(SKIP_4) | instid1(VALU_DEP_4)
	v_cvt_f64_i32_e32 v[17:18], v17
	v_add_f64 v[7:8], v[7:8], -v[9:10]
	s_mov_b32 s11, 0xbca3cee1
	v_cmp_eq_f64_e32 vcc_lo, 0x7ff00000, v[3:4]
	v_add_f64 v[13:14], v[15:16], v[11:12]
	v_mul_f64 v[21:22], v[17:18], s[8:9]
	s_delay_alu instid0(VALU_DEP_4) | instskip(NEXT) | instid1(VALU_DEP_3)
	v_ldexp_f64 v[7:8], v[7:8], 1
	v_add_f64 v[9:10], v[13:14], -v[15:16]
	v_fma_f64 v[15:16], v[1:2], v[19:20], s[10:11]
	s_delay_alu instid0(VALU_DEP_4) | instskip(SKIP_2) | instid1(VALU_DEP_3)
	v_fma_f64 v[23:24], v[17:18], s[8:9], -v[21:22]
	s_mov_b32 s8, 0x47512144
	s_mov_b32 s9, 0x3da6c25c
	v_add_f64 v[9:10], v[11:12], -v[9:10]
	s_delay_alu instid0(VALU_DEP_3)
	v_add_f64 v[11:12], v[15:16], s[8:9]
	s_mov_b32 s8, 0x3b39803f
	s_mov_b32 s9, 0x3c7abc9e
	s_delay_alu instid0(VALU_DEP_3) | instid1(SALU_CYCLE_1)
	v_fma_f64 v[15:16], v[17:18], s[8:9], v[23:24]
	s_mov_b32 s8, 0x67e58a13
	s_mov_b32 s9, 0x3e205c13
	s_delay_alu instid0(VALU_DEP_3) | instskip(NEXT) | instid1(VALU_DEP_3)
	v_add_f64 v[7:8], v[7:8], v[9:10]
	v_fma_f64 v[9:10], v[1:2], v[11:12], -v[19:20]
	s_delay_alu instid0(VALU_DEP_3) | instskip(NEXT) | instid1(VALU_DEP_3)
	v_add_f64 v[17:18], v[21:22], v[15:16]
	v_add_f64 v[19:20], v[13:14], v[7:8]
	s_delay_alu instid0(VALU_DEP_3) | instskip(SKIP_2) | instid1(VALU_DEP_3)
	v_add_f64 v[9:10], v[9:10], s[8:9]
	s_mov_b32 s8, 0xe7f95efc
	s_mov_b32 s9, 0x3e9102bc
	v_add_f64 v[21:22], v[17:18], -v[21:22]
	s_delay_alu instid0(VALU_DEP_3) | instskip(NEXT) | instid1(VALU_DEP_3)
	v_add_f64 v[23:24], v[17:18], v[19:20]
	v_fma_f64 v[11:12], v[1:2], v[9:10], -v[11:12]
	v_add_f64 v[13:14], v[19:20], -v[13:14]
	s_delay_alu instid0(VALU_DEP_4) | instskip(NEXT) | instid1(VALU_DEP_4)
	v_add_f64 v[15:16], v[15:16], -v[21:22]
	v_add_f64 v[25:26], v[23:24], -v[17:18]
	s_delay_alu instid0(VALU_DEP_4) | instskip(NEXT) | instid1(VALU_DEP_4)
	v_add_f64 v[11:12], v[11:12], s[8:9]
	v_add_f64 v[7:8], v[7:8], -v[13:14]
	s_mov_b32 s8, 0xfe8cfca0
	s_mov_b32 s9, 0x3ef7f900
	s_delay_alu instid0(VALU_DEP_3) | instskip(NEXT) | instid1(VALU_DEP_3)
	v_add_f64 v[27:28], v[23:24], -v[25:26]
	v_fma_f64 v[9:10], v[1:2], v[11:12], -v[9:10]
	v_add_f64 v[13:14], v[19:20], -v[25:26]
	s_delay_alu instid0(VALU_DEP_4) | instskip(NEXT) | instid1(VALU_DEP_4)
	v_add_f64 v[19:20], v[15:16], v[7:8]
	v_add_f64 v[17:18], v[17:18], -v[27:28]
	s_delay_alu instid0(VALU_DEP_4) | instskip(SKIP_2) | instid1(VALU_DEP_2)
	v_add_f64 v[9:10], v[9:10], s[8:9]
	s_mov_b32 s8, 0x75633d73
	s_mov_b32 s9, 0x3f54b82e
	v_add_f64 v[13:14], v[13:14], v[17:18]
	s_delay_alu instid0(VALU_DEP_2) | instskip(SKIP_1) | instid1(VALU_DEP_3)
	v_fma_f64 v[11:12], v[1:2], v[9:10], -v[11:12]
	v_add_f64 v[17:18], v[19:20], -v[15:16]
	v_add_f64 v[13:14], v[19:20], v[13:14]
	s_delay_alu instid0(VALU_DEP_3) | instskip(NEXT) | instid1(VALU_DEP_3)
	v_add_f64 v[11:12], v[11:12], s[8:9]
	v_add_f64 v[19:20], v[19:20], -v[17:18]
	v_add_f64 v[7:8], v[7:8], -v[17:18]
	s_mov_b32 s8, 0x554a9085
	s_mov_b32 s9, 0x3fa26bf6
	s_delay_alu instid0(VALU_DEP_4) | instskip(NEXT) | instid1(VALU_DEP_4)
	v_add_f64 v[21:22], v[23:24], v[13:14]
	v_fma_f64 v[9:10], v[1:2], v[11:12], -v[9:10]
	s_delay_alu instid0(VALU_DEP_4) | instskip(NEXT) | instid1(VALU_DEP_3)
	v_add_f64 v[15:16], v[15:16], -v[19:20]
	v_add_f64 v[17:18], v[21:22], -v[23:24]
	s_delay_alu instid0(VALU_DEP_3) | instskip(NEXT) | instid1(VALU_DEP_3)
	v_add_f64 v[9:10], v[9:10], s[8:9]
	v_add_f64 v[7:8], v[7:8], v[15:16]
	s_mov_b32 s8, 0x81213db9
	s_mov_b32 s9, 0x3fd608d8
	s_delay_alu instid0(VALU_DEP_3) | instskip(NEXT) | instid1(VALU_DEP_3)
	v_add_f64 v[13:14], v[13:14], -v[17:18]
	v_fma_f64 v[11:12], v[1:2], v[9:10], -v[11:12]
	s_delay_alu instid0(VALU_DEP_2) | instskip(NEXT) | instid1(VALU_DEP_2)
	v_add_f64 v[7:8], v[7:8], v[13:14]
	v_add_f64 v[11:12], v[11:12], s[8:9]
	s_mov_b32 s8, 0xe9d2f61f
	s_mov_b32 s9, 0xbfe12166
	s_delay_alu instid0(VALU_DEP_2) | instskip(NEXT) | instid1(VALU_DEP_2)
	v_add_f64 v[7:8], v[21:22], v[7:8]
	v_fma_f64 v[1:2], v[1:2], v[11:12], -v[9:10]
	s_delay_alu instid0(VALU_DEP_2) | instskip(SKIP_1) | instid1(VALU_DEP_3)
	v_dual_cndmask_b32 v8, v8, v4 :: v_dual_cndmask_b32 v7, v7, v3
	v_cmp_neq_f64_e32 vcc_lo, 0, v[3:4]
	v_add_f64 v[1:2], v[1:2], s[8:9]
	s_delay_alu instid0(VALU_DEP_3) | instskip(NEXT) | instid1(VALU_DEP_4)
	v_cndmask_b32_e32 v4, 0xfff00000, v8, vcc_lo
	v_cndmask_b32_e32 v3, 0, v7, vcc_lo
	s_delay_alu instid0(VALU_DEP_3) | instskip(NEXT) | instid1(VALU_DEP_2)
	v_add_f64 v[1:2], v[1:2], -v[9:10]
	v_mul_f64 v[3:4], v[3:4], v[5:6]
	s_delay_alu instid0(VALU_DEP_1)
	v_fma_f64 v[3:4], v[1:2], 0.5, -v[3:4]
                                        ; implicit-def: $vgpr1_vgpr2
.LBB7_208:
	s_and_not1_saveexec_b32 s7, s7
	s_cbranch_execz .LBB7_210
; %bb.209:
	v_div_scale_f64 v[3:4], null, v[1:2], v[1:2], 0x40200000
	v_div_scale_f64 v[9:10], vcc_lo, 0x40200000, v[1:2], 0x40200000
	s_mov_b32 s8, 0x93812603
	s_mov_b32 s9, 0xbc72fecc
	;; [unrolled: 1-line block ×4, first 2 shown]
	v_cmp_nlt_f64_e64 s2, 0x4090cc00, v[1:2]
	s_delay_alu instid0(VALU_DEP_3) | instskip(SKIP_2) | instid1(VALU_DEP_1)
	v_rcp_f64_e32 v[5:6], v[3:4]
	s_waitcnt_depctr 0xfff
	v_fma_f64 v[7:8], -v[3:4], v[5:6], 1.0
	v_fma_f64 v[5:6], v[5:6], v[7:8], v[5:6]
	s_delay_alu instid0(VALU_DEP_1) | instskip(NEXT) | instid1(VALU_DEP_1)
	v_fma_f64 v[7:8], -v[3:4], v[5:6], 1.0
	v_fma_f64 v[5:6], v[5:6], v[7:8], v[5:6]
	s_delay_alu instid0(VALU_DEP_1) | instskip(NEXT) | instid1(VALU_DEP_1)
	v_mul_f64 v[7:8], v[9:10], v[5:6]
	v_fma_f64 v[3:4], -v[3:4], v[7:8], v[9:10]
	s_delay_alu instid0(VALU_DEP_1) | instskip(SKIP_1) | instid1(VALU_DEP_2)
	v_div_fmas_f64 v[3:4], v[3:4], v[5:6], v[7:8]
	v_cmp_gt_f64_e32 vcc_lo, 0x10000000, v[1:2]
	v_div_fixup_f64 v[3:4], v[3:4], v[1:2], 0x40200000
	v_cndmask_b32_e64 v15, 0, 1, vcc_lo
	s_delay_alu instid0(VALU_DEP_1) | instskip(NEXT) | instid1(VALU_DEP_1)
	v_lshlrev_b32_e32 v15, 8, v15
	v_ldexp_f64 v[15:16], v[1:2], v15
	s_delay_alu instid0(VALU_DEP_4) | instskip(NEXT) | instid1(VALU_DEP_2)
	v_add_f64 v[3:4], v[3:4], -2.0
	v_rsq_f64_e32 v[17:18], v[15:16]
	s_delay_alu instid0(VALU_DEP_1)
	v_fma_f64 v[5:6], v[3:4], s[10:11], s[8:9]
	s_mov_b32 s11, 0xbc5871a5
	s_mov_b32 s8, 0x41a8cdf4
	;; [unrolled: 1-line block ×3, first 2 shown]
	s_waitcnt_depctr 0xfff
	v_mul_f64 v[19:20], v[15:16], v[17:18]
	v_mul_f64 v[17:18], v[17:18], 0.5
	v_fma_f64 v[7:8], v[3:4], v[5:6], s[10:11]
	s_mov_b32 s10, 0x6a5dcb37
	s_mov_b32 s11, 0x3e5ade15
	s_delay_alu instid0(VALU_DEP_2) | instskip(NEXT) | instid1(VALU_DEP_2)
	v_fma_f64 v[21:22], -v[17:18], v[19:20], 0.5
	v_add_f64 v[7:8], v[7:8], s[8:9]
	s_mov_b32 s8, 0x74d77641
	s_mov_b32 s9, 0xbca82f94
	s_delay_alu instid0(VALU_DEP_2) | instskip(SKIP_1) | instid1(VALU_DEP_3)
	v_fma_f64 v[19:20], v[19:20], v[21:22], v[19:20]
	v_fma_f64 v[17:18], v[17:18], v[21:22], v[17:18]
	v_fma_f64 v[5:6], v[3:4], v[7:8], -v[5:6]
	s_delay_alu instid0(VALU_DEP_3) | instskip(NEXT) | instid1(VALU_DEP_2)
	v_fma_f64 v[21:22], -v[19:20], v[19:20], v[15:16]
	v_add_f64 v[5:6], v[5:6], s[8:9]
	s_mov_b32 s8, 0x6b94785b
	s_mov_b32 s9, 0x3cc3dbf9
	s_delay_alu instid0(VALU_DEP_1) | instskip(NEXT) | instid1(VALU_DEP_1)
	v_fma_f64 v[7:8], v[3:4], v[5:6], -v[7:8]
	v_add_f64 v[7:8], v[7:8], s[8:9]
	s_mov_b32 s8, 0xecfadd36
	s_mov_b32 s9, 0xbce0a690
	s_delay_alu instid0(VALU_DEP_1) | instskip(NEXT) | instid1(VALU_DEP_1)
	v_fma_f64 v[5:6], v[3:4], v[7:8], -v[5:6]
	;; [unrolled: 5-line block ×14, first 2 shown]
	v_add_f64 v[5:6], v[5:6], s[8:9]
	s_mov_b32 s8, 0x652b82fe
	s_mov_b32 s9, 0xbff71547
	s_delay_alu instid0(SALU_CYCLE_1) | instskip(SKIP_2) | instid1(VALU_DEP_2)
	v_mul_f64 v[9:10], v[1:2], s[8:9]
	s_mov_b32 s8, 0x81e3e46f
	s_mov_b32 s9, 0x3e929159
	v_fma_f64 v[7:8], v[3:4], v[5:6], -v[7:8]
	s_delay_alu instid0(VALU_DEP_2) | instskip(NEXT) | instid1(VALU_DEP_2)
	v_rndne_f64_e32 v[9:10], v[9:10]
	v_add_f64 v[7:8], v[7:8], s[8:9]
	s_mov_b32 s8, 0xfefa39ef
	s_mov_b32 s9, 0xbfe62e42
	s_delay_alu instid0(VALU_DEP_2) | instid1(SALU_CYCLE_1)
	v_fma_f64 v[11:12], v[9:10], s[8:9], -v[1:2]
	s_mov_b32 s8, 0x3b39803f
	s_mov_b32 s9, 0xbc7abc9e
	s_delay_alu instid0(VALU_DEP_2) | instskip(NEXT) | instid1(VALU_DEP_2)
	v_fma_f64 v[5:6], v[3:4], v[7:8], -v[5:6]
	v_fma_f64 v[11:12], v[9:10], s[8:9], v[11:12]
	s_mov_b32 s8, 0x7f18d3a9
	s_mov_b32 s9, 0xbebebb54
	s_delay_alu instid0(VALU_DEP_2) | instid1(SALU_CYCLE_1)
	v_add_f64 v[5:6], v[5:6], s[8:9]
	s_mov_b32 s8, 0xfca7ab0c
	s_mov_b32 s9, 0x3e928af3
	s_delay_alu instid0(VALU_DEP_2) | instid1(SALU_CYCLE_1)
	v_fma_f64 v[13:14], v[11:12], s[10:11], s[8:9]
	s_mov_b32 s8, 0x623fde64
	s_mov_b32 s9, 0x3ec71dee
	s_delay_alu instid0(VALU_DEP_2) | instskip(NEXT) | instid1(VALU_DEP_2)
	v_fma_f64 v[7:8], v[3:4], v[5:6], -v[7:8]
	v_fma_f64 v[13:14], v[11:12], v[13:14], s[8:9]
	s_mov_b32 s8, 0xcc7470a9
	s_mov_b32 s9, 0x3eed413f
	s_delay_alu instid0(VALU_DEP_2) | instid1(SALU_CYCLE_1)
	v_add_f64 v[7:8], v[7:8], s[8:9]
	s_mov_b32 s8, 0x7c89e6b0
	s_mov_b32 s9, 0x3efa0199
	s_delay_alu instid0(VALU_DEP_2) | instid1(SALU_CYCLE_1)
	v_fma_f64 v[13:14], v[11:12], v[13:14], s[8:9]
	;; [unrolled: 13-line block ×5, first 2 shown]
	s_mov_b32 s8, 0x9f4e6907
	s_mov_b32 s9, 0x400385bd
	s_delay_alu instid0(VALU_DEP_2) | instskip(SKIP_2) | instid1(VALU_DEP_4)
	v_fma_f64 v[3:4], v[3:4], v[5:6], -v[7:8]
	v_fma_f64 v[5:6], v[21:22], v[17:18], v[19:20]
	v_cvt_i32_f64_e32 v19, v[9:10]
	v_fma_f64 v[13:14], v[11:12], v[13:14], 1.0
	s_delay_alu instid0(VALU_DEP_4) | instskip(NEXT) | instid1(VALU_DEP_4)
	v_add_f64 v[3:4], v[3:4], s[8:9]
	v_fma_f64 v[9:10], -v[5:6], v[5:6], v[15:16]
	s_delay_alu instid0(VALU_DEP_3) | instskip(NEXT) | instid1(VALU_DEP_3)
	v_fma_f64 v[11:12], v[11:12], v[13:14], 1.0
	v_add_f64 v[3:4], v[3:4], -v[7:8]
	s_delay_alu instid0(VALU_DEP_3) | instskip(NEXT) | instid1(VALU_DEP_3)
	v_fma_f64 v[5:6], v[9:10], v[17:18], v[5:6]
	v_ldexp_f64 v[7:8], v[11:12], v19
	s_delay_alu instid0(VALU_DEP_3) | instskip(SKIP_2) | instid1(VALU_DEP_2)
	v_mul_f64 v[1:2], v[3:4], 0.5
	v_cndmask_b32_e64 v3, 0, 0xffffff80, vcc_lo
	v_cmp_class_f64_e64 vcc_lo, v[15:16], 0x260
	v_ldexp_f64 v[3:4], v[5:6], v3
	v_cndmask_b32_e64 v6, 0, v8, s2
	v_cndmask_b32_e64 v5, 0, v7, s2
	s_delay_alu instid0(VALU_DEP_1) | instskip(NEXT) | instid1(VALU_DEP_4)
	v_mul_f64 v[1:2], v[5:6], v[1:2]
	v_dual_cndmask_b32 v4, v4, v16 :: v_dual_cndmask_b32 v3, v3, v15
	s_delay_alu instid0(VALU_DEP_1) | instskip(NEXT) | instid1(VALU_DEP_1)
	v_div_scale_f64 v[5:6], null, v[3:4], v[3:4], v[1:2]
	v_rcp_f64_e32 v[7:8], v[5:6]
	s_waitcnt_depctr 0xfff
	v_fma_f64 v[9:10], -v[5:6], v[7:8], 1.0
	s_delay_alu instid0(VALU_DEP_1) | instskip(NEXT) | instid1(VALU_DEP_1)
	v_fma_f64 v[7:8], v[7:8], v[9:10], v[7:8]
	v_fma_f64 v[9:10], -v[5:6], v[7:8], 1.0
	s_delay_alu instid0(VALU_DEP_1) | instskip(SKIP_1) | instid1(VALU_DEP_1)
	v_fma_f64 v[7:8], v[7:8], v[9:10], v[7:8]
	v_div_scale_f64 v[9:10], vcc_lo, v[1:2], v[3:4], v[1:2]
	v_mul_f64 v[11:12], v[9:10], v[7:8]
	s_delay_alu instid0(VALU_DEP_1) | instskip(NEXT) | instid1(VALU_DEP_1)
	v_fma_f64 v[5:6], -v[5:6], v[11:12], v[9:10]
	v_div_fmas_f64 v[5:6], v[5:6], v[7:8], v[11:12]
	s_delay_alu instid0(VALU_DEP_1)
	v_div_fixup_f64 v[3:4], v[5:6], v[3:4], v[1:2]
.LBB7_210:
	s_or_b32 exec_lo, exec_lo, s7
.LBB7_211:
	s_delay_alu instid0(SALU_CYCLE_1)
	s_or_b32 exec_lo, exec_lo, s6
.LBB7_212:
	s_delay_alu instid0(SALU_CYCLE_1)
	s_or_b32 exec_lo, exec_lo, s3
	global_store_b64 v0, v[3:4], s[4:5]
	s_or_b32 exec_lo, exec_lo, s20
                                        ; implicit-def: $vgpr6
                                        ; implicit-def: $vgpr7
	s_and_not1_saveexec_b32 s2, s25
	s_cbranch_execz .LBB7_166
	s_branch .LBB7_8
	.section	.rodata,"a",@progbits
	.p2align	6, 0x0
	.amdhsa_kernel _ZN2at6native32elementwise_kernel_manual_unrollILi128ELi4EZNS0_22gpu_kernel_impl_nocastIZZZNS0_12_GLOBAL__N_130modified_bessel_k0_kernel_cudaERNS_18TensorIteratorBaseEENKUlvE_clEvENKUlvE_clEvEUldE_EEvS5_RKT_EUlibE_EEviT1_
		.amdhsa_group_segment_fixed_size 0
		.amdhsa_private_segment_fixed_size 0
		.amdhsa_kernarg_size 360
		.amdhsa_user_sgpr_count 15
		.amdhsa_user_sgpr_dispatch_ptr 0
		.amdhsa_user_sgpr_queue_ptr 0
		.amdhsa_user_sgpr_kernarg_segment_ptr 1
		.amdhsa_user_sgpr_dispatch_id 0
		.amdhsa_user_sgpr_private_segment_size 0
		.amdhsa_wavefront_size32 1
		.amdhsa_uses_dynamic_stack 0
		.amdhsa_enable_private_segment 0
		.amdhsa_system_sgpr_workgroup_id_x 1
		.amdhsa_system_sgpr_workgroup_id_y 0
		.amdhsa_system_sgpr_workgroup_id_z 0
		.amdhsa_system_sgpr_workgroup_info 0
		.amdhsa_system_vgpr_workitem_id 0
		.amdhsa_next_free_vgpr 39
		.amdhsa_next_free_sgpr 56
		.amdhsa_reserve_vcc 1
		.amdhsa_float_round_mode_32 0
		.amdhsa_float_round_mode_16_64 0
		.amdhsa_float_denorm_mode_32 3
		.amdhsa_float_denorm_mode_16_64 3
		.amdhsa_dx10_clamp 1
		.amdhsa_ieee_mode 1
		.amdhsa_fp16_overflow 0
		.amdhsa_workgroup_processor_mode 1
		.amdhsa_memory_ordered 1
		.amdhsa_forward_progress 0
		.amdhsa_shared_vgpr_count 0
		.amdhsa_exception_fp_ieee_invalid_op 0
		.amdhsa_exception_fp_denorm_src 0
		.amdhsa_exception_fp_ieee_div_zero 0
		.amdhsa_exception_fp_ieee_overflow 0
		.amdhsa_exception_fp_ieee_underflow 0
		.amdhsa_exception_fp_ieee_inexact 0
		.amdhsa_exception_int_div_zero 0
	.end_amdhsa_kernel
	.section	.text._ZN2at6native32elementwise_kernel_manual_unrollILi128ELi4EZNS0_22gpu_kernel_impl_nocastIZZZNS0_12_GLOBAL__N_130modified_bessel_k0_kernel_cudaERNS_18TensorIteratorBaseEENKUlvE_clEvENKUlvE_clEvEUldE_EEvS5_RKT_EUlibE_EEviT1_,"axG",@progbits,_ZN2at6native32elementwise_kernel_manual_unrollILi128ELi4EZNS0_22gpu_kernel_impl_nocastIZZZNS0_12_GLOBAL__N_130modified_bessel_k0_kernel_cudaERNS_18TensorIteratorBaseEENKUlvE_clEvENKUlvE_clEvEUldE_EEvS5_RKT_EUlibE_EEviT1_,comdat
.Lfunc_end7:
	.size	_ZN2at6native32elementwise_kernel_manual_unrollILi128ELi4EZNS0_22gpu_kernel_impl_nocastIZZZNS0_12_GLOBAL__N_130modified_bessel_k0_kernel_cudaERNS_18TensorIteratorBaseEENKUlvE_clEvENKUlvE_clEvEUldE_EEvS5_RKT_EUlibE_EEviT1_, .Lfunc_end7-_ZN2at6native32elementwise_kernel_manual_unrollILi128ELi4EZNS0_22gpu_kernel_impl_nocastIZZZNS0_12_GLOBAL__N_130modified_bessel_k0_kernel_cudaERNS_18TensorIteratorBaseEENKUlvE_clEvENKUlvE_clEvEUldE_EEvS5_RKT_EUlibE_EEviT1_
                                        ; -- End function
	.section	.AMDGPU.csdata,"",@progbits
; Kernel info:
; codeLenInByte = 57716
; NumSgprs: 58
; NumVgprs: 39
; ScratchSize: 0
; MemoryBound: 0
; FloatMode: 240
; IeeeMode: 1
; LDSByteSize: 0 bytes/workgroup (compile time only)
; SGPRBlocks: 7
; VGPRBlocks: 4
; NumSGPRsForWavesPerEU: 58
; NumVGPRsForWavesPerEU: 39
; Occupancy: 16
; WaveLimiterHint : 1
; COMPUTE_PGM_RSRC2:SCRATCH_EN: 0
; COMPUTE_PGM_RSRC2:USER_SGPR: 15
; COMPUTE_PGM_RSRC2:TRAP_HANDLER: 0
; COMPUTE_PGM_RSRC2:TGID_X_EN: 1
; COMPUTE_PGM_RSRC2:TGID_Y_EN: 0
; COMPUTE_PGM_RSRC2:TGID_Z_EN: 0
; COMPUTE_PGM_RSRC2:TIDIG_COMP_CNT: 0
	.text
	.p2align	2                               ; -- Begin function _ZN2at6native6invokeIZZZNS0_12_GLOBAL__N_130modified_bessel_k0_kernel_cudaERNS_18TensorIteratorBaseEENKUlvE_clEvENKUlvE_clEvEUldE_i15function_traitsIS7_EEENT1_11result_typeERKT_PrKPcPKT0_PKN3c1010ScalarTypeEi
	.type	_ZN2at6native6invokeIZZZNS0_12_GLOBAL__N_130modified_bessel_k0_kernel_cudaERNS_18TensorIteratorBaseEENKUlvE_clEvENKUlvE_clEvEUldE_i15function_traitsIS7_EEENT1_11result_typeERKT_PrKPcPKT0_PKN3c1010ScalarTypeEi,@function
_ZN2at6native6invokeIZZZNS0_12_GLOBAL__N_130modified_bessel_k0_kernel_cudaERNS_18TensorIteratorBaseEENKUlvE_clEvENKUlvE_clEvEUldE_i15function_traitsIS7_EEENT1_11result_typeERKT_PrKPcPKT0_PKN3c1010ScalarTypeEi: ; @_ZN2at6native6invokeIZZZNS0_12_GLOBAL__N_130modified_bessel_k0_kernel_cudaERNS_18TensorIteratorBaseEENKUlvE_clEvENKUlvE_clEvEUldE_i15function_traitsIS7_EEENT1_11result_typeERKT_PrKPcPKT0_PKN3c1010ScalarTypeEi
; %bb.0:
	s_waitcnt vmcnt(0) expcnt(0) lgkmcnt(0)
	v_mul_lo_u32 v2, v4, v2
	v_and_b32_e32 v4, 0xff, v3
	s_mov_b32 s0, 0
	s_mov_b32 s1, exec_lo
	s_delay_alu instid0(VALU_DEP_2) | instskip(SKIP_1) | instid1(VALU_DEP_2)
	v_ashrrev_i32_e32 v5, 31, v2
	v_add_co_u32 v0, vcc_lo, v0, v2
                                        ; implicit-def: $vgpr2_vgpr3
	v_add_co_ci_u32_e32 v1, vcc_lo, v1, v5, vcc_lo
	v_cmpx_lt_i16_e32 10, v4
	s_xor_b32 s2, exec_lo, s1
	s_cbranch_execz .LBB8_7
; %bb.1:
	s_mov_b32 s3, 0
	s_mov_b32 s6, 0
	;; [unrolled: 1-line block ×3, first 2 shown]
                                        ; implicit-def: $vgpr2_vgpr3
	s_mov_b32 s0, exec_lo
	v_cmpx_lt_i16_e32 25, v4
	s_xor_b32 s5, exec_lo, s0
	s_cbranch_execnz .LBB8_64
; %bb.2:
	s_and_not1_saveexec_b32 s5, s5
	s_cbranch_execnz .LBB8_99
.LBB8_3:
	s_or_b32 exec_lo, exec_lo, s5
	s_and_saveexec_b32 s0, s6
	s_cbranch_execnz .LBB8_126
.LBB8_4:
	s_or_b32 exec_lo, exec_lo, s0
	s_and_saveexec_b32 s0, s3
	s_delay_alu instid0(SALU_CYCLE_1)
	s_xor_b32 s0, exec_lo, s0
	s_cbranch_execz .LBB8_6
.LBB8_5:
	flat_load_u8 v0, v[0:1]
	v_mov_b32_e32 v2, 0
	s_or_b32 s4, s4, exec_lo
	s_waitcnt vmcnt(0) lgkmcnt(0)
	v_cmp_ne_u16_e32 vcc_lo, 0, v0
	v_cndmask_b32_e64 v3, 0, 0x3ff00000, vcc_lo
.LBB8_6:
	s_or_b32 exec_lo, exec_lo, s0
	s_delay_alu instid0(SALU_CYCLE_1)
	s_and_b32 s0, s4, exec_lo
                                        ; implicit-def: $vgpr4
                                        ; implicit-def: $vgpr0_vgpr1
.LBB8_7:
	s_and_not1_saveexec_b32 s1, s2
	s_cbranch_execnz .LBB8_10
; %bb.8:
	s_or_b32 exec_lo, exec_lo, s1
                                        ; implicit-def: $vgpr0_vgpr1
	s_and_saveexec_b32 s1, s0
	s_cbranch_execnz .LBB8_51
.LBB8_9:
	s_or_b32 exec_lo, exec_lo, s1
	s_waitcnt vmcnt(0) lgkmcnt(0)
	s_setpc_b64 s[30:31]
.LBB8_10:
	s_mov_b32 s2, exec_lo
                                        ; implicit-def: $vgpr2_vgpr3
	v_cmpx_lt_i16_e32 4, v4
	s_xor_b32 s2, exec_lo, s2
	s_cbranch_execz .LBB8_32
; %bb.11:
	s_mov_b32 s3, exec_lo
                                        ; implicit-def: $vgpr2_vgpr3
	v_cmpx_lt_i16_e32 7, v4
	s_xor_b32 s3, exec_lo, s3
	s_cbranch_execz .LBB8_21
; %bb.12:
	;; [unrolled: 6-line block ×4, first 2 shown]
	flat_load_b64 v[2:3], v[0:1]
                                        ; implicit-def: $vgpr0_vgpr1
.LBB8_15:
	s_and_not1_saveexec_b32 s5, s5
	s_cbranch_execz .LBB8_17
; %bb.16:
	flat_load_b32 v0, v[0:1]
	s_waitcnt vmcnt(0) lgkmcnt(0)
	v_cvt_f64_f32_e32 v[2:3], v0
.LBB8_17:
	s_or_b32 exec_lo, exec_lo, s5
                                        ; implicit-def: $vgpr0_vgpr1
.LBB8_18:
	s_and_not1_saveexec_b32 s4, s4
	s_cbranch_execz .LBB8_20
; %bb.19:
	flat_load_b32 v0, v[0:1]
	s_waitcnt vmcnt(0) lgkmcnt(0)
	v_cvt_f32_f16_e32 v0, v0
	s_delay_alu instid0(VALU_DEP_1)
	v_cvt_f64_f32_e32 v[2:3], v0
.LBB8_20:
	s_or_b32 exec_lo, exec_lo, s4
                                        ; implicit-def: $vgpr0_vgpr1
                                        ; implicit-def: $vgpr4
.LBB8_21:
	s_and_not1_saveexec_b32 s3, s3
	s_cbranch_execz .LBB8_31
; %bb.22:
	s_mov_b32 s4, exec_lo
                                        ; implicit-def: $vgpr2_vgpr3
	v_cmpx_lt_i16_e32 5, v4
	s_xor_b32 s4, exec_lo, s4
	s_cbranch_execz .LBB8_28
; %bb.23:
	s_mov_b32 s5, exec_lo
                                        ; implicit-def: $vgpr2_vgpr3
	v_cmpx_lt_i16_e32 6, v4
	s_xor_b32 s5, exec_lo, s5
	s_cbranch_execz .LBB8_25
; %bb.24:
	s_waitcnt vmcnt(0) lgkmcnt(0)
	flat_load_b64 v[2:3], v[0:1]
                                        ; implicit-def: $vgpr0_vgpr1
.LBB8_25:
	s_and_not1_saveexec_b32 s5, s5
	s_cbranch_execz .LBB8_27
; %bb.26:
	flat_load_b32 v0, v[0:1]
	s_waitcnt vmcnt(0) lgkmcnt(0)
	v_cvt_f64_f32_e32 v[2:3], v0
.LBB8_27:
	s_or_b32 exec_lo, exec_lo, s5
                                        ; implicit-def: $vgpr0_vgpr1
.LBB8_28:
	s_and_not1_saveexec_b32 s4, s4
	s_cbranch_execz .LBB8_30
; %bb.29:
	flat_load_u16 v0, v[0:1]
	s_waitcnt vmcnt(0) lgkmcnt(0)
	v_cvt_f32_f16_e32 v0, v0
	s_delay_alu instid0(VALU_DEP_1)
	v_cvt_f64_f32_e32 v[2:3], v0
.LBB8_30:
	s_or_b32 exec_lo, exec_lo, s4
.LBB8_31:
	s_delay_alu instid0(SALU_CYCLE_1)
	s_or_b32 exec_lo, exec_lo, s3
                                        ; implicit-def: $vgpr4
                                        ; implicit-def: $vgpr0_vgpr1
.LBB8_32:
	s_and_not1_saveexec_b32 s2, s2
	s_cbranch_execz .LBB8_50
; %bb.33:
	s_mov_b32 s3, exec_lo
                                        ; implicit-def: $vgpr2_vgpr3
	v_cmpx_lt_i16_e32 1, v4
	s_xor_b32 s3, exec_lo, s3
	s_cbranch_execz .LBB8_43
; %bb.34:
	s_mov_b32 s4, exec_lo
                                        ; implicit-def: $vgpr2_vgpr3
	v_cmpx_lt_i16_e32 2, v4
	s_xor_b32 s4, exec_lo, s4
	;; [unrolled: 6-line block ×3, first 2 shown]
	s_cbranch_execz .LBB8_37
; %bb.36:
	flat_load_b64 v[0:1], v[0:1]
	s_waitcnt vmcnt(0) lgkmcnt(0)
	v_cvt_f64_i32_e32 v[1:2], v1
	v_cvt_f64_u32_e32 v[3:4], v0
	s_delay_alu instid0(VALU_DEP_2) | instskip(NEXT) | instid1(VALU_DEP_1)
	v_ldexp_f64 v[1:2], v[1:2], 32
	v_add_f64 v[2:3], v[1:2], v[3:4]
                                        ; implicit-def: $vgpr0_vgpr1
.LBB8_37:
	s_and_not1_saveexec_b32 s5, s5
	s_cbranch_execz .LBB8_39
; %bb.38:
	flat_load_b32 v0, v[0:1]
	s_waitcnt vmcnt(0) lgkmcnt(0)
	v_cvt_f64_i32_e32 v[2:3], v0
.LBB8_39:
	s_or_b32 exec_lo, exec_lo, s5
                                        ; implicit-def: $vgpr0_vgpr1
.LBB8_40:
	s_and_not1_saveexec_b32 s4, s4
	s_cbranch_execz .LBB8_42
; %bb.41:
	flat_load_i16 v0, v[0:1]
	s_waitcnt vmcnt(0) lgkmcnt(0)
	v_cvt_f64_i32_e32 v[2:3], v0
.LBB8_42:
	s_or_b32 exec_lo, exec_lo, s4
                                        ; implicit-def: $vgpr0_vgpr1
                                        ; implicit-def: $vgpr4
.LBB8_43:
	s_and_not1_saveexec_b32 s3, s3
	s_cbranch_execz .LBB8_49
; %bb.44:
	s_mov_b32 s4, exec_lo
                                        ; implicit-def: $vgpr2_vgpr3
	v_cmpx_lt_i16_e32 0, v4
	s_xor_b32 s4, exec_lo, s4
	s_cbranch_execz .LBB8_46
; %bb.45:
	flat_load_i8 v0, v[0:1]
	s_waitcnt vmcnt(0) lgkmcnt(0)
	v_cvt_f64_i32_e32 v[2:3], v0
                                        ; implicit-def: $vgpr0_vgpr1
.LBB8_46:
	s_and_not1_saveexec_b32 s4, s4
	s_cbranch_execz .LBB8_48
; %bb.47:
	flat_load_u8 v0, v[0:1]
	s_waitcnt vmcnt(0) lgkmcnt(0)
	v_cvt_f64_u32_e32 v[2:3], v0
.LBB8_48:
	s_or_b32 exec_lo, exec_lo, s4
.LBB8_49:
	s_delay_alu instid0(SALU_CYCLE_1)
	s_or_b32 exec_lo, exec_lo, s3
.LBB8_50:
	s_delay_alu instid0(SALU_CYCLE_1) | instskip(NEXT) | instid1(SALU_CYCLE_1)
	s_or_b32 exec_lo, exec_lo, s2
	s_or_b32 s0, s0, exec_lo
	s_or_b32 exec_lo, exec_lo, s1
                                        ; implicit-def: $vgpr0_vgpr1
	s_and_saveexec_b32 s1, s0
	s_cbranch_execz .LBB8_9
.LBB8_51:
	v_mov_b32_e32 v0, 0
	v_mov_b32_e32 v1, 0x7ff00000
	s_mov_b32 s2, exec_lo
	s_waitcnt vmcnt(0) lgkmcnt(0)
	s_delay_alu instid0(VALU_DEP_3)
	v_cmpx_neq_f64_e32 0, v[2:3]
	s_cbranch_execz .LBB8_63
; %bb.52:
	v_mov_b32_e32 v0, 0
	v_mov_b32_e32 v1, 0x7ff80000
	s_mov_b32 s3, exec_lo
	v_cmpx_ngt_f64_e32 0, v[2:3]
	s_cbranch_execz .LBB8_62
; %bb.53:
                                        ; implicit-def: $vgpr0_vgpr1
	s_mov_b32 s0, exec_lo
	v_cmpx_ge_f64_e32 2.0, v[2:3]
	s_xor_b32 s4, exec_lo, s0
	s_cbranch_execz .LBB8_59
; %bb.54:
	v_mul_f64 v[0:1], v[2:3], 0.5
	s_mov_b32 s0, exec_lo
                                        ; implicit-def: $vgpr4_vgpr5
	v_cmpx_ge_f64_e32 0x40200000, v[2:3]
	s_xor_b32 s0, exec_lo, s0
	s_cbranch_execz .LBB8_56
; %bb.55:
	s_delay_alu instid0(VALU_DEP_2)
	v_add_f64 v[4:5], v[0:1], -2.0
	s_mov_b32 s6, 0x977da589
	s_mov_b32 s7, 0x3c833362
	s_mov_b32 s9, 0xbc545cb7
	s_mov_b32 s8, 0x2134d0ef
	v_cmp_nlt_f64_e32 vcc_lo, 0x40900000, v[2:3]
	s_delay_alu instid0(VALU_DEP_2) | instskip(SKIP_3) | instid1(VALU_DEP_1)
	v_fma_f64 v[6:7], v[4:5], s[8:9], s[6:7]
	s_mov_b32 s9, 0x3c545cb7
	s_mov_b32 s6, 0x721ebbb4
	;; [unrolled: 1-line block ×3, first 2 shown]
	v_fma_f64 v[8:9], v[4:5], v[6:7], s[8:9]
	s_mov_b32 s8, 0x6a5dcb37
	s_mov_b32 s9, 0x3e5ade15
	s_delay_alu instid0(VALU_DEP_1) | instskip(SKIP_2) | instid1(VALU_DEP_1)
	v_add_f64 v[8:9], v[8:9], s[6:7]
	s_mov_b32 s6, 0x93f65eba
	s_mov_b32 s7, 0x3cdee6d8
	v_fma_f64 v[6:7], v[4:5], v[8:9], -v[6:7]
	s_delay_alu instid0(VALU_DEP_1) | instskip(SKIP_2) | instid1(VALU_DEP_1)
	v_add_f64 v[6:7], v[6:7], s[6:7]
	s_mov_b32 s6, 0xc297fbeb
	s_mov_b32 s7, 0xbd0a5022
	v_fma_f64 v[8:9], v[4:5], v[6:7], -v[8:9]
	;; [unrolled: 5-line block ×20, first 2 shown]
	s_delay_alu instid0(VALU_DEP_1) | instskip(SKIP_2) | instid1(SALU_CYCLE_1)
	v_add_f64 v[8:9], v[8:9], s[6:7]
	s_mov_b32 s6, 0x652b82fe
	s_mov_b32 s7, 0x3ff71547
	v_mul_f64 v[10:11], v[2:3], s[6:7]
	s_mov_b32 s6, 0xf3dde3dd
	s_mov_b32 s7, 0x3f859961
	s_delay_alu instid0(VALU_DEP_2) | instskip(NEXT) | instid1(VALU_DEP_2)
	v_fma_f64 v[6:7], v[4:5], v[8:9], -v[6:7]
	v_rndne_f64_e32 v[10:11], v[10:11]
	s_delay_alu instid0(VALU_DEP_2)
	v_add_f64 v[6:7], v[6:7], s[6:7]
	s_mov_b32 s6, 0xfefa39ef
	s_mov_b32 s7, 0xbfe62e42
	s_delay_alu instid0(VALU_DEP_2) | instid1(SALU_CYCLE_1)
	v_fma_f64 v[12:13], v[10:11], s[6:7], v[2:3]
	s_mov_b32 s6, 0x3b39803f
	s_mov_b32 s7, 0xbc7abc9e
	s_delay_alu instid0(VALU_DEP_2) | instskip(NEXT) | instid1(VALU_DEP_2)
	v_fma_f64 v[8:9], v[4:5], v[6:7], -v[8:9]
	v_fma_f64 v[12:13], v[10:11], s[6:7], v[12:13]
	s_mov_b32 s6, 0xf121b6f0
	s_mov_b32 s7, 0xbf984e9e
	v_cvt_i32_f64_e32 v10, v[10:11]
	s_delay_alu instid0(VALU_DEP_3)
	v_add_f64 v[8:9], v[8:9], s[6:7]
	s_mov_b32 s6, 0xfca7ab0c
	s_mov_b32 s7, 0x3e928af3
	s_delay_alu instid0(VALU_DEP_3) | instid1(SALU_CYCLE_1)
	v_fma_f64 v[14:15], v[12:13], s[8:9], s[6:7]
	s_mov_b32 s6, 0x623fde64
	s_mov_b32 s7, 0x3ec71dee
	s_delay_alu instid0(VALU_DEP_2) | instskip(NEXT) | instid1(VALU_DEP_2)
	v_fma_f64 v[6:7], v[4:5], v[8:9], -v[6:7]
	v_fma_f64 v[14:15], v[12:13], v[14:15], s[6:7]
	s_mov_b32 s6, 0xcea8a32d
	s_mov_b32 s7, 0x3fa93e8a
	s_delay_alu instid0(VALU_DEP_2) | instid1(SALU_CYCLE_1)
	v_add_f64 v[6:7], v[6:7], s[6:7]
	s_mov_b32 s6, 0x7c89e6b0
	s_mov_b32 s7, 0x3efa0199
	s_delay_alu instid0(VALU_DEP_2) | instid1(SALU_CYCLE_1)
	v_fma_f64 v[14:15], v[12:13], v[14:15], s[6:7]
	s_mov_b32 s6, 0x14761f6e
	s_mov_b32 s7, 0x3f2a01a0
	s_delay_alu instid0(VALU_DEP_2) | instskip(NEXT) | instid1(VALU_DEP_2)
	v_fma_f64 v[8:9], v[4:5], v[6:7], -v[8:9]
	v_fma_f64 v[14:15], v[12:13], v[14:15], s[6:7]
	s_mov_b32 s6, 0x342d06ea
	s_mov_b32 s7, 0xbfb84b70
	s_delay_alu instid0(VALU_DEP_2) | instid1(SALU_CYCLE_1)
	v_add_f64 v[8:9], v[8:9], s[6:7]
	s_mov_b32 s6, 0x1852b7b0
	s_mov_b32 s7, 0x3f56c16c
	s_delay_alu instid0(VALU_DEP_2) | instid1(SALU_CYCLE_1)
	;; [unrolled: 13-line block ×4, first 2 shown]
	v_fma_f64 v[14:15], v[12:13], v[14:15], s[6:7]
	s_mov_b32 s6, 0x9035a22a
	s_mov_b32 s7, 0x3fe5a84e
	s_delay_alu instid0(VALU_DEP_2) | instskip(NEXT) | instid1(VALU_DEP_2)
	v_fma_f64 v[4:5], v[4:5], v[8:9], -v[6:7]
	v_fma_f64 v[8:9], v[12:13], v[14:15], 1.0
	s_delay_alu instid0(VALU_DEP_2) | instskip(NEXT) | instid1(VALU_DEP_2)
	v_add_f64 v[4:5], v[4:5], s[6:7]
	v_fma_f64 v[8:9], v[12:13], v[8:9], 1.0
	s_delay_alu instid0(VALU_DEP_2) | instskip(NEXT) | instid1(VALU_DEP_2)
	v_add_f64 v[4:5], v[4:5], -v[6:7]
	v_ldexp_f64 v[6:7], v[8:9], v10
	s_delay_alu instid0(VALU_DEP_2) | instskip(NEXT) | instid1(VALU_DEP_2)
	v_mul_f64 v[4:5], v[4:5], 0.5
	v_cndmask_b32_e32 v7, 0x7ff00000, v7, vcc_lo
	s_delay_alu instid0(VALU_DEP_3) | instskip(NEXT) | instid1(VALU_DEP_1)
	v_cndmask_b32_e32 v6, 0, v6, vcc_lo
	v_mul_f64 v[4:5], v[6:7], v[4:5]
.LBB8_56:
	s_and_not1_saveexec_b32 s5, s0
	s_cbranch_execz .LBB8_58
; %bb.57:
	v_div_scale_f64 v[4:5], null, v[2:3], v[2:3], 0x40400000
	v_div_scale_f64 v[10:11], vcc_lo, 0x40400000, v[2:3], 0x40400000
	s_mov_b32 s6, 0x66119130
	s_mov_b32 s7, 0xbc5646da
	;; [unrolled: 1-line block ×4, first 2 shown]
	v_cmp_nlt_f64_e64 s0, 0x40900000, v[2:3]
	s_delay_alu instid0(VALU_DEP_3) | instskip(SKIP_2) | instid1(VALU_DEP_1)
	v_rcp_f64_e32 v[6:7], v[4:5]
	s_waitcnt_depctr 0xfff
	v_fma_f64 v[8:9], -v[4:5], v[6:7], 1.0
	v_fma_f64 v[6:7], v[6:7], v[8:9], v[6:7]
	s_delay_alu instid0(VALU_DEP_1) | instskip(NEXT) | instid1(VALU_DEP_1)
	v_fma_f64 v[8:9], -v[4:5], v[6:7], 1.0
	v_fma_f64 v[6:7], v[6:7], v[8:9], v[6:7]
	s_delay_alu instid0(VALU_DEP_1) | instskip(NEXT) | instid1(VALU_DEP_1)
	v_mul_f64 v[8:9], v[10:11], v[6:7]
	v_fma_f64 v[4:5], -v[4:5], v[8:9], v[10:11]
	s_delay_alu instid0(VALU_DEP_1) | instskip(SKIP_1) | instid1(VALU_DEP_2)
	v_div_fmas_f64 v[4:5], v[4:5], v[6:7], v[8:9]
	v_cmp_gt_f64_e32 vcc_lo, 0x10000000, v[2:3]
	v_div_fixup_f64 v[4:5], v[4:5], v[2:3], 0x40400000
	v_cndmask_b32_e64 v16, 0, 1, vcc_lo
	s_delay_alu instid0(VALU_DEP_1) | instskip(NEXT) | instid1(VALU_DEP_1)
	v_lshlrev_b32_e32 v16, 8, v16
	v_ldexp_f64 v[16:17], v[2:3], v16
	s_delay_alu instid0(VALU_DEP_4) | instskip(NEXT) | instid1(VALU_DEP_2)
	v_add_f64 v[4:5], v[4:5], -2.0
	v_rsq_f64_e32 v[18:19], v[16:17]
	s_delay_alu instid0(VALU_DEP_1)
	v_fma_f64 v[6:7], v[4:5], s[8:9], s[6:7]
	s_mov_b32 s9, 0x3c60adb7
	s_mov_b32 s6, 0x12d98421
	s_mov_b32 s7, 0x3c89be18
	s_waitcnt_depctr 0xfff
	v_mul_f64 v[20:21], v[16:17], v[18:19]
	v_mul_f64 v[18:19], v[18:19], 0.5
	v_fma_f64 v[8:9], v[4:5], v[6:7], s[8:9]
	s_mov_b32 s8, 0x6a5dcb37
	s_mov_b32 s9, 0x3e5ade15
	s_delay_alu instid0(VALU_DEP_2) | instskip(NEXT) | instid1(VALU_DEP_2)
	v_fma_f64 v[22:23], -v[18:19], v[20:21], 0.5
	v_add_f64 v[8:9], v[8:9], s[6:7]
	s_mov_b32 s6, 0x76041cd
	s_mov_b32 s7, 0x3c83f3dd
	s_delay_alu instid0(VALU_DEP_2) | instskip(SKIP_1) | instid1(VALU_DEP_3)
	v_fma_f64 v[20:21], v[20:21], v[22:23], v[20:21]
	v_fma_f64 v[18:19], v[18:19], v[22:23], v[18:19]
	v_fma_f64 v[6:7], v[4:5], v[8:9], -v[6:7]
	s_delay_alu instid0(VALU_DEP_3) | instskip(NEXT) | instid1(VALU_DEP_2)
	v_fma_f64 v[22:23], -v[20:21], v[20:21], v[16:17]
	v_add_f64 v[6:7], v[6:7], s[6:7]
	s_mov_b32 s6, 0xabd21fe4
	s_mov_b32 s7, 0xbcb4600b
	s_delay_alu instid0(VALU_DEP_1) | instskip(NEXT) | instid1(VALU_DEP_1)
	v_fma_f64 v[8:9], v[4:5], v[6:7], -v[8:9]
	v_add_f64 v[8:9], v[8:9], s[6:7]
	s_mov_b32 s6, 0xd908de38
	s_mov_b32 s7, 0xbcb8aee7
	s_delay_alu instid0(VALU_DEP_1) | instskip(NEXT) | instid1(VALU_DEP_1)
	v_fma_f64 v[6:7], v[4:5], v[8:9], -v[6:7]
	;; [unrolled: 5-line block ×14, first 2 shown]
	v_add_f64 v[6:7], v[6:7], s[6:7]
	s_mov_b32 s6, 0x652b82fe
	s_mov_b32 s7, 0x3ff71547
	s_delay_alu instid0(SALU_CYCLE_1) | instskip(SKIP_2) | instid1(VALU_DEP_2)
	v_mul_f64 v[10:11], v[2:3], s[6:7]
	s_mov_b32 s6, 0xa9225b87
	s_mov_b32 s7, 0x3e2d2c64
	v_fma_f64 v[8:9], v[4:5], v[6:7], -v[8:9]
	s_delay_alu instid0(VALU_DEP_2) | instskip(NEXT) | instid1(VALU_DEP_2)
	v_rndne_f64_e32 v[10:11], v[10:11]
	v_add_f64 v[8:9], v[8:9], s[6:7]
	s_mov_b32 s6, 0xfefa39ef
	s_mov_b32 s7, 0xbfe62e42
	s_delay_alu instid0(VALU_DEP_2) | instid1(SALU_CYCLE_1)
	v_fma_f64 v[12:13], v[10:11], s[6:7], v[2:3]
	s_mov_b32 s6, 0x3b39803f
	s_mov_b32 s7, 0xbc7abc9e
	s_delay_alu instid0(VALU_DEP_2) | instskip(NEXT) | instid1(VALU_DEP_2)
	v_fma_f64 v[6:7], v[4:5], v[8:9], -v[6:7]
	v_fma_f64 v[12:13], v[10:11], s[6:7], v[12:13]
	s_mov_b32 s6, 0x80d6d56d
	s_mov_b32 s7, 0x3e585692
	s_delay_alu instid0(VALU_DEP_2) | instid1(SALU_CYCLE_1)
	v_add_f64 v[6:7], v[6:7], s[6:7]
	s_mov_b32 s6, 0xfca7ab0c
	s_mov_b32 s7, 0x3e928af3
	s_delay_alu instid0(VALU_DEP_2) | instid1(SALU_CYCLE_1)
	v_fma_f64 v[14:15], v[12:13], s[8:9], s[6:7]
	s_mov_b32 s6, 0x623fde64
	s_mov_b32 s7, 0x3ec71dee
	s_delay_alu instid0(VALU_DEP_2) | instskip(NEXT) | instid1(VALU_DEP_2)
	v_fma_f64 v[8:9], v[4:5], v[6:7], -v[8:9]
	v_fma_f64 v[14:15], v[12:13], v[14:15], s[6:7]
	s_mov_b32 s6, 0xd9cd616e
	s_mov_b32 s7, 0x3e8b8007
	s_delay_alu instid0(VALU_DEP_2) | instid1(SALU_CYCLE_1)
	v_add_f64 v[8:9], v[8:9], s[6:7]
	s_mov_b32 s6, 0x7c89e6b0
	s_mov_b32 s7, 0x3efa0199
	s_delay_alu instid0(VALU_DEP_2) | instid1(SALU_CYCLE_1)
	v_fma_f64 v[14:15], v[12:13], v[14:15], s[6:7]
	s_mov_b32 s6, 0x14761f6e
	s_mov_b32 s7, 0x3f2a01a0
	s_delay_alu instid0(VALU_DEP_2) | instskip(NEXT) | instid1(VALU_DEP_2)
	v_fma_f64 v[6:7], v[4:5], v[8:9], -v[6:7]
	v_fma_f64 v[14:15], v[12:13], v[14:15], s[6:7]
	s_mov_b32 s6, 0xc101c586
	s_mov_b32 s7, 0x3ec8412b
	s_delay_alu instid0(VALU_DEP_2) | instid1(SALU_CYCLE_1)
	v_add_f64 v[6:7], v[6:7], s[6:7]
	s_mov_b32 s6, 0x1852b7b0
	s_mov_b32 s7, 0x3f56c16c
	s_delay_alu instid0(VALU_DEP_2) | instid1(SALU_CYCLE_1)
	v_fma_f64 v[14:15], v[12:13], v[14:15], s[6:7]
	s_mov_b32 s6, 0x11122322
	s_mov_b32 s7, 0x3f811111
	s_delay_alu instid0(VALU_DEP_2) | instskip(NEXT) | instid1(VALU_DEP_2)
	v_fma_f64 v[8:9], v[4:5], v[6:7], -v[8:9]
	v_fma_f64 v[14:15], v[12:13], v[14:15], s[6:7]
	s_mov_b32 s6, 0x78999e52
	s_mov_b32 s7, 0x3f120fa3
	s_delay_alu instid0(VALU_DEP_2) | instid1(SALU_CYCLE_1)
	v_add_f64 v[8:9], v[8:9], s[6:7]
	s_mov_b32 s6, 0x555502a1
	s_mov_b32 s7, 0x3fa55555
	s_delay_alu instid0(VALU_DEP_2) | instid1(SALU_CYCLE_1)
	v_fma_f64 v[14:15], v[12:13], v[14:15], s[6:7]
	s_mov_b32 s6, 0x55555511
	s_mov_b32 s7, 0x3fc55555
	s_delay_alu instid0(VALU_DEP_2) | instskip(NEXT) | instid1(VALU_DEP_2)
	v_fma_f64 v[6:7], v[4:5], v[8:9], -v[6:7]
	v_fma_f64 v[14:15], v[12:13], v[14:15], s[6:7]
	s_mov_b32 s6, 0xa2e59049
	s_mov_b32 s7, 0x3f6b998c
	s_delay_alu instid0(VALU_DEP_2) | instid1(SALU_CYCLE_1)
	v_add_f64 v[6:7], v[6:7], s[6:7]
	s_mov_b32 s6, 11
	s_mov_b32 s7, 0x3fe00000
	s_delay_alu instid0(VALU_DEP_2) | instid1(SALU_CYCLE_1)
	v_fma_f64 v[14:15], v[12:13], v[14:15], s[6:7]
	s_mov_b32 s6, 0xaca809cb
	s_mov_b32 s7, 0x3fe9be62
	s_delay_alu instid0(VALU_DEP_2) | instskip(SKIP_2) | instid1(VALU_DEP_4)
	v_fma_f64 v[4:5], v[4:5], v[6:7], -v[8:9]
	v_fma_f64 v[6:7], v[22:23], v[18:19], v[20:21]
	v_cvt_i32_f64_e32 v20, v[10:11]
	v_fma_f64 v[14:15], v[12:13], v[14:15], 1.0
	s_delay_alu instid0(VALU_DEP_4) | instskip(NEXT) | instid1(VALU_DEP_4)
	v_add_f64 v[4:5], v[4:5], s[6:7]
	v_fma_f64 v[10:11], -v[6:7], v[6:7], v[16:17]
	s_delay_alu instid0(VALU_DEP_3) | instskip(NEXT) | instid1(VALU_DEP_3)
	v_fma_f64 v[12:13], v[12:13], v[14:15], 1.0
	v_add_f64 v[4:5], v[4:5], -v[8:9]
	s_delay_alu instid0(VALU_DEP_3) | instskip(SKIP_4) | instid1(VALU_DEP_4)
	v_fma_f64 v[6:7], v[10:11], v[18:19], v[6:7]
	v_cndmask_b32_e64 v10, 0, 0xffffff80, vcc_lo
	v_cmp_class_f64_e64 vcc_lo, v[16:17], 0x260
	v_ldexp_f64 v[8:9], v[12:13], v20
	v_mul_f64 v[4:5], v[4:5], 0.5
	v_ldexp_f64 v[6:7], v[6:7], v10
	s_delay_alu instid0(VALU_DEP_3) | instskip(NEXT) | instid1(VALU_DEP_4)
	v_cndmask_b32_e64 v9, 0x7ff00000, v9, s0
	v_cndmask_b32_e64 v8, 0, v8, s0
	s_delay_alu instid0(VALU_DEP_1) | instskip(NEXT) | instid1(VALU_DEP_4)
	v_mul_f64 v[4:5], v[8:9], v[4:5]
	v_dual_cndmask_b32 v7, v7, v17 :: v_dual_cndmask_b32 v6, v6, v16
	s_delay_alu instid0(VALU_DEP_1) | instskip(NEXT) | instid1(VALU_DEP_1)
	v_div_scale_f64 v[8:9], null, v[6:7], v[6:7], v[4:5]
	v_rcp_f64_e32 v[10:11], v[8:9]
	s_waitcnt_depctr 0xfff
	v_fma_f64 v[12:13], -v[8:9], v[10:11], 1.0
	s_delay_alu instid0(VALU_DEP_1) | instskip(NEXT) | instid1(VALU_DEP_1)
	v_fma_f64 v[10:11], v[10:11], v[12:13], v[10:11]
	v_fma_f64 v[12:13], -v[8:9], v[10:11], 1.0
	s_delay_alu instid0(VALU_DEP_1) | instskip(SKIP_1) | instid1(VALU_DEP_1)
	v_fma_f64 v[10:11], v[10:11], v[12:13], v[10:11]
	v_div_scale_f64 v[12:13], vcc_lo, v[4:5], v[6:7], v[4:5]
	v_mul_f64 v[14:15], v[12:13], v[10:11]
	s_delay_alu instid0(VALU_DEP_1) | instskip(NEXT) | instid1(VALU_DEP_1)
	v_fma_f64 v[8:9], -v[8:9], v[14:15], v[12:13]
	v_div_fmas_f64 v[8:9], v[8:9], v[10:11], v[14:15]
	s_delay_alu instid0(VALU_DEP_1)
	v_div_fixup_f64 v[4:5], v[8:9], v[6:7], v[4:5]
.LBB8_58:
	s_or_b32 exec_lo, exec_lo, s5
	s_delay_alu instid0(VALU_DEP_2)
	v_frexp_mant_f64_e32 v[6:7], v[0:1]
	s_mov_b32 s7, 0x3fe55555
	s_mov_b32 s6, 0x55555555
	v_mov_b32_e32 v8, 0
	s_mov_b32 s8, 0x6b47b09a
	s_mov_b32 s10, 0xbf559e2b
	;; [unrolled: 1-line block ×4, first 2 shown]
	v_fma_f64 v[2:3], v[2:3], v[2:3], -2.0
	s_delay_alu instid0(VALU_DEP_3) | instskip(SKIP_2) | instid1(VALU_DEP_1)
	v_cmp_gt_f64_e32 vcc_lo, s[6:7], v[6:7]
	s_mov_b32 s6, 0x55555780
	v_cndmask_b32_e64 v9, 0x3ff00000, 2.0, vcc_lo
	v_mul_f64 v[6:7], v[6:7], v[8:9]
	s_delay_alu instid0(VALU_DEP_1) | instskip(SKIP_1) | instid1(VALU_DEP_2)
	v_add_f64 v[8:9], v[6:7], 1.0
	v_add_f64 v[14:15], v[6:7], -1.0
	v_rcp_f64_e32 v[10:11], v[8:9]
	v_add_f64 v[16:17], v[8:9], -1.0
	s_delay_alu instid0(VALU_DEP_1) | instskip(SKIP_2) | instid1(VALU_DEP_1)
	v_add_f64 v[6:7], v[6:7], -v[16:17]
	s_waitcnt_depctr 0xfff
	v_fma_f64 v[12:13], -v[8:9], v[10:11], 1.0
	v_fma_f64 v[10:11], v[12:13], v[10:11], v[10:11]
	s_delay_alu instid0(VALU_DEP_1) | instskip(NEXT) | instid1(VALU_DEP_1)
	v_fma_f64 v[12:13], -v[8:9], v[10:11], 1.0
	v_fma_f64 v[10:11], v[12:13], v[10:11], v[10:11]
	s_delay_alu instid0(VALU_DEP_1) | instskip(NEXT) | instid1(VALU_DEP_1)
	v_mul_f64 v[12:13], v[14:15], v[10:11]
	v_mul_f64 v[18:19], v[8:9], v[12:13]
	s_delay_alu instid0(VALU_DEP_1) | instskip(NEXT) | instid1(VALU_DEP_1)
	v_fma_f64 v[8:9], v[12:13], v[8:9], -v[18:19]
	v_fma_f64 v[6:7], v[12:13], v[6:7], v[8:9]
	s_delay_alu instid0(VALU_DEP_1) | instskip(NEXT) | instid1(VALU_DEP_1)
	v_add_f64 v[8:9], v[18:19], v[6:7]
	v_add_f64 v[16:17], v[14:15], -v[8:9]
	v_add_f64 v[18:19], v[8:9], -v[18:19]
	s_delay_alu instid0(VALU_DEP_2) | instskip(NEXT) | instid1(VALU_DEP_2)
	v_add_f64 v[14:15], v[14:15], -v[16:17]
	v_add_f64 v[6:7], v[18:19], -v[6:7]
	v_frexp_exp_i32_f64_e32 v18, v[0:1]
	s_delay_alu instid0(VALU_DEP_3) | instskip(NEXT) | instid1(VALU_DEP_1)
	v_add_f64 v[8:9], v[14:15], -v[8:9]
	v_add_f64 v[6:7], v[6:7], v[8:9]
	s_delay_alu instid0(VALU_DEP_1) | instskip(NEXT) | instid1(VALU_DEP_1)
	v_add_f64 v[6:7], v[16:17], v[6:7]
	v_mul_f64 v[6:7], v[10:11], v[6:7]
	s_delay_alu instid0(VALU_DEP_1) | instskip(NEXT) | instid1(VALU_DEP_1)
	v_add_f64 v[8:9], v[12:13], v[6:7]
	v_mul_f64 v[10:11], v[8:9], v[8:9]
	s_delay_alu instid0(VALU_DEP_1) | instskip(SKIP_3) | instid1(VALU_DEP_2)
	v_fma_f64 v[14:15], v[10:11], s[10:11], s[8:9]
	s_mov_b32 s8, 0xd7f4df2e
	s_mov_b32 s9, 0x3fc7474d
	v_mul_f64 v[16:17], v[8:9], v[10:11]
	v_fma_f64 v[14:15], v[10:11], v[14:15], s[8:9]
	s_mov_b32 s8, 0x16291751
	s_mov_b32 s9, 0x3fcc71c0
	s_delay_alu instid0(VALU_DEP_1) | instid1(SALU_CYCLE_1)
	v_fma_f64 v[14:15], v[10:11], v[14:15], s[8:9]
	s_mov_b32 s8, 0x9b27acf1
	s_mov_b32 s9, 0x3fd24924
	s_delay_alu instid0(VALU_DEP_1) | instid1(SALU_CYCLE_1)
	;; [unrolled: 4-line block ×3, first 2 shown]
	v_fma_f64 v[14:15], v[10:11], v[14:15], s[8:9]
	s_mov_b32 s9, 0x3ca3cee1
	s_mov_b32 s8, 0xe6a7fd77
	s_delay_alu instid0(VALU_DEP_1) | instskip(SKIP_4) | instid1(VALU_DEP_3)
	v_fma_f64 v[10:11], v[10:11], v[14:15], s[6:7]
	v_ldexp_f64 v[14:15], v[8:9], 1
	v_add_f64 v[8:9], v[8:9], -v[12:13]
	s_mov_b32 s6, 0xc384c2aa
	s_mov_b32 s7, 0x3d27fb0a
	v_mul_f64 v[10:11], v[16:17], v[10:11]
	v_subrev_co_ci_u32_e32 v16, vcc_lo, 0, v18, vcc_lo
	v_fma_f64 v[18:19], v[2:3], s[8:9], s[6:7]
	s_mov_b32 s6, 0xfefa39ef
	s_mov_b32 s7, 0x3fe62e42
	s_delay_alu instid0(VALU_DEP_2) | instskip(SKIP_4) | instid1(VALU_DEP_4)
	v_cvt_f64_i32_e32 v[16:17], v16
	v_add_f64 v[6:7], v[6:7], -v[8:9]
	s_mov_b32 s9, 0xbca3cee1
	v_cmp_eq_f64_e32 vcc_lo, 0x7ff00000, v[0:1]
	v_add_f64 v[12:13], v[14:15], v[10:11]
	v_mul_f64 v[20:21], v[16:17], s[6:7]
	s_delay_alu instid0(VALU_DEP_4) | instskip(NEXT) | instid1(VALU_DEP_3)
	v_ldexp_f64 v[6:7], v[6:7], 1
	v_add_f64 v[8:9], v[12:13], -v[14:15]
	v_fma_f64 v[14:15], v[2:3], v[18:19], s[8:9]
	s_delay_alu instid0(VALU_DEP_4) | instskip(SKIP_2) | instid1(VALU_DEP_3)
	v_fma_f64 v[22:23], v[16:17], s[6:7], -v[20:21]
	s_mov_b32 s6, 0x47512144
	s_mov_b32 s7, 0x3da6c25c
	v_add_f64 v[8:9], v[10:11], -v[8:9]
	s_delay_alu instid0(VALU_DEP_3)
	v_add_f64 v[10:11], v[14:15], s[6:7]
	s_mov_b32 s6, 0x3b39803f
	s_mov_b32 s7, 0x3c7abc9e
	s_delay_alu instid0(VALU_DEP_3) | instid1(SALU_CYCLE_1)
	v_fma_f64 v[14:15], v[16:17], s[6:7], v[22:23]
	s_mov_b32 s6, 0x67e58a13
	s_mov_b32 s7, 0x3e205c13
	s_delay_alu instid0(VALU_DEP_3) | instskip(NEXT) | instid1(VALU_DEP_3)
	v_add_f64 v[6:7], v[6:7], v[8:9]
	v_fma_f64 v[8:9], v[2:3], v[10:11], -v[18:19]
	s_delay_alu instid0(VALU_DEP_3) | instskip(NEXT) | instid1(VALU_DEP_3)
	v_add_f64 v[16:17], v[20:21], v[14:15]
	v_add_f64 v[18:19], v[12:13], v[6:7]
	s_delay_alu instid0(VALU_DEP_3) | instskip(SKIP_2) | instid1(VALU_DEP_3)
	v_add_f64 v[8:9], v[8:9], s[6:7]
	s_mov_b32 s6, 0xe7f95efc
	s_mov_b32 s7, 0x3e9102bc
	v_add_f64 v[20:21], v[16:17], -v[20:21]
	s_delay_alu instid0(VALU_DEP_3) | instskip(NEXT) | instid1(VALU_DEP_3)
	v_add_f64 v[22:23], v[16:17], v[18:19]
	v_fma_f64 v[10:11], v[2:3], v[8:9], -v[10:11]
	v_add_f64 v[12:13], v[18:19], -v[12:13]
	s_delay_alu instid0(VALU_DEP_4) | instskip(NEXT) | instid1(VALU_DEP_4)
	v_add_f64 v[14:15], v[14:15], -v[20:21]
	v_add_f64 v[24:25], v[22:23], -v[16:17]
	s_delay_alu instid0(VALU_DEP_4) | instskip(NEXT) | instid1(VALU_DEP_4)
	v_add_f64 v[10:11], v[10:11], s[6:7]
	v_add_f64 v[6:7], v[6:7], -v[12:13]
	s_mov_b32 s6, 0xfe8cfca0
	s_mov_b32 s7, 0x3ef7f900
	s_delay_alu instid0(VALU_DEP_3) | instskip(NEXT) | instid1(VALU_DEP_3)
	v_add_f64 v[26:27], v[22:23], -v[24:25]
	v_fma_f64 v[8:9], v[2:3], v[10:11], -v[8:9]
	v_add_f64 v[12:13], v[18:19], -v[24:25]
	s_delay_alu instid0(VALU_DEP_4) | instskip(NEXT) | instid1(VALU_DEP_4)
	v_add_f64 v[18:19], v[14:15], v[6:7]
	v_add_f64 v[16:17], v[16:17], -v[26:27]
	s_delay_alu instid0(VALU_DEP_4) | instskip(SKIP_2) | instid1(VALU_DEP_2)
	v_add_f64 v[8:9], v[8:9], s[6:7]
	s_mov_b32 s6, 0x75633d73
	s_mov_b32 s7, 0x3f54b82e
	v_add_f64 v[12:13], v[12:13], v[16:17]
	s_delay_alu instid0(VALU_DEP_2) | instskip(SKIP_1) | instid1(VALU_DEP_3)
	v_fma_f64 v[10:11], v[2:3], v[8:9], -v[10:11]
	v_add_f64 v[16:17], v[18:19], -v[14:15]
	v_add_f64 v[12:13], v[18:19], v[12:13]
	s_delay_alu instid0(VALU_DEP_3) | instskip(NEXT) | instid1(VALU_DEP_3)
	v_add_f64 v[10:11], v[10:11], s[6:7]
	v_add_f64 v[18:19], v[18:19], -v[16:17]
	v_add_f64 v[6:7], v[6:7], -v[16:17]
	s_mov_b32 s6, 0x554a9085
	s_mov_b32 s7, 0x3fa26bf6
	s_delay_alu instid0(VALU_DEP_4) | instskip(NEXT) | instid1(VALU_DEP_4)
	v_add_f64 v[20:21], v[22:23], v[12:13]
	v_fma_f64 v[8:9], v[2:3], v[10:11], -v[8:9]
	s_delay_alu instid0(VALU_DEP_4) | instskip(NEXT) | instid1(VALU_DEP_3)
	v_add_f64 v[14:15], v[14:15], -v[18:19]
	v_add_f64 v[16:17], v[20:21], -v[22:23]
	s_delay_alu instid0(VALU_DEP_3) | instskip(NEXT) | instid1(VALU_DEP_3)
	v_add_f64 v[8:9], v[8:9], s[6:7]
	v_add_f64 v[6:7], v[6:7], v[14:15]
	s_mov_b32 s6, 0x81213db9
	s_mov_b32 s7, 0x3fd608d8
	s_delay_alu instid0(VALU_DEP_3) | instskip(NEXT) | instid1(VALU_DEP_3)
	v_add_f64 v[12:13], v[12:13], -v[16:17]
	v_fma_f64 v[10:11], v[2:3], v[8:9], -v[10:11]
	s_delay_alu instid0(VALU_DEP_2) | instskip(NEXT) | instid1(VALU_DEP_2)
	v_add_f64 v[6:7], v[6:7], v[12:13]
	v_add_f64 v[10:11], v[10:11], s[6:7]
	s_mov_b32 s6, 0xe9d2f61f
	s_mov_b32 s7, 0xbfe12166
	s_delay_alu instid0(VALU_DEP_2) | instskip(NEXT) | instid1(VALU_DEP_2)
	v_add_f64 v[6:7], v[20:21], v[6:7]
	v_fma_f64 v[2:3], v[2:3], v[10:11], -v[8:9]
	s_delay_alu instid0(VALU_DEP_2) | instskip(SKIP_1) | instid1(VALU_DEP_3)
	v_dual_cndmask_b32 v7, v7, v1 :: v_dual_cndmask_b32 v6, v6, v0
	v_cmp_neq_f64_e32 vcc_lo, 0, v[0:1]
	v_add_f64 v[0:1], v[2:3], s[6:7]
	s_delay_alu instid0(VALU_DEP_3) | instskip(NEXT) | instid1(VALU_DEP_4)
	v_cndmask_b32_e32 v3, 0xfff00000, v7, vcc_lo
	v_cndmask_b32_e32 v2, 0, v6, vcc_lo
	s_delay_alu instid0(VALU_DEP_3) | instskip(NEXT) | instid1(VALU_DEP_2)
	v_add_f64 v[0:1], v[0:1], -v[8:9]
	v_mul_f64 v[2:3], v[2:3], v[4:5]
	s_delay_alu instid0(VALU_DEP_1)
	v_fma_f64 v[0:1], v[0:1], 0.5, -v[2:3]
                                        ; implicit-def: $vgpr2_vgpr3
.LBB8_59:
	s_and_not1_saveexec_b32 s4, s4
	s_cbranch_execz .LBB8_61
; %bb.60:
	v_div_scale_f64 v[0:1], null, v[2:3], v[2:3], 0x40200000
	v_div_scale_f64 v[8:9], vcc_lo, 0x40200000, v[2:3], 0x40200000
	s_mov_b32 s6, 0x93812603
	s_mov_b32 s7, 0xbc72fecc
	;; [unrolled: 1-line block ×4, first 2 shown]
	v_cmp_nlt_f64_e64 s0, 0x4090cc00, v[2:3]
	s_delay_alu instid0(VALU_DEP_3) | instskip(SKIP_2) | instid1(VALU_DEP_1)
	v_rcp_f64_e32 v[4:5], v[0:1]
	s_waitcnt_depctr 0xfff
	v_fma_f64 v[6:7], -v[0:1], v[4:5], 1.0
	v_fma_f64 v[4:5], v[4:5], v[6:7], v[4:5]
	s_delay_alu instid0(VALU_DEP_1) | instskip(NEXT) | instid1(VALU_DEP_1)
	v_fma_f64 v[6:7], -v[0:1], v[4:5], 1.0
	v_fma_f64 v[4:5], v[4:5], v[6:7], v[4:5]
	s_delay_alu instid0(VALU_DEP_1) | instskip(NEXT) | instid1(VALU_DEP_1)
	v_mul_f64 v[6:7], v[8:9], v[4:5]
	v_fma_f64 v[0:1], -v[0:1], v[6:7], v[8:9]
	s_delay_alu instid0(VALU_DEP_1) | instskip(SKIP_1) | instid1(VALU_DEP_2)
	v_div_fmas_f64 v[0:1], v[0:1], v[4:5], v[6:7]
	v_cmp_gt_f64_e32 vcc_lo, 0x10000000, v[2:3]
	v_div_fixup_f64 v[0:1], v[0:1], v[2:3], 0x40200000
	v_cndmask_b32_e64 v14, 0, 1, vcc_lo
	s_delay_alu instid0(VALU_DEP_1) | instskip(NEXT) | instid1(VALU_DEP_1)
	v_lshlrev_b32_e32 v14, 8, v14
	v_ldexp_f64 v[14:15], v[2:3], v14
	s_delay_alu instid0(VALU_DEP_4) | instskip(NEXT) | instid1(VALU_DEP_2)
	v_add_f64 v[0:1], v[0:1], -2.0
	v_rsq_f64_e32 v[16:17], v[14:15]
	s_delay_alu instid0(VALU_DEP_1)
	v_fma_f64 v[4:5], v[0:1], s[8:9], s[6:7]
	s_mov_b32 s9, 0xbc5871a5
	s_mov_b32 s6, 0x41a8cdf4
	;; [unrolled: 1-line block ×3, first 2 shown]
	s_waitcnt_depctr 0xfff
	v_mul_f64 v[18:19], v[14:15], v[16:17]
	v_mul_f64 v[16:17], v[16:17], 0.5
	v_fma_f64 v[6:7], v[0:1], v[4:5], s[8:9]
	s_mov_b32 s8, 0x6a5dcb37
	s_mov_b32 s9, 0x3e5ade15
	s_delay_alu instid0(VALU_DEP_2) | instskip(NEXT) | instid1(VALU_DEP_2)
	v_fma_f64 v[20:21], -v[16:17], v[18:19], 0.5
	v_add_f64 v[6:7], v[6:7], s[6:7]
	s_mov_b32 s6, 0x74d77641
	s_mov_b32 s7, 0xbca82f94
	s_delay_alu instid0(VALU_DEP_2) | instskip(SKIP_1) | instid1(VALU_DEP_3)
	v_fma_f64 v[18:19], v[18:19], v[20:21], v[18:19]
	v_fma_f64 v[16:17], v[16:17], v[20:21], v[16:17]
	v_fma_f64 v[4:5], v[0:1], v[6:7], -v[4:5]
	s_delay_alu instid0(VALU_DEP_3) | instskip(NEXT) | instid1(VALU_DEP_2)
	v_fma_f64 v[20:21], -v[18:19], v[18:19], v[14:15]
	v_add_f64 v[4:5], v[4:5], s[6:7]
	s_mov_b32 s6, 0x6b94785b
	s_mov_b32 s7, 0x3cc3dbf9
	s_delay_alu instid0(VALU_DEP_1) | instskip(NEXT) | instid1(VALU_DEP_1)
	v_fma_f64 v[6:7], v[0:1], v[4:5], -v[6:7]
	v_add_f64 v[6:7], v[6:7], s[6:7]
	s_mov_b32 s6, 0xecfadd36
	s_mov_b32 s7, 0xbce0a690
	s_delay_alu instid0(VALU_DEP_1) | instskip(NEXT) | instid1(VALU_DEP_1)
	v_fma_f64 v[4:5], v[0:1], v[6:7], -v[4:5]
	;; [unrolled: 5-line block ×14, first 2 shown]
	v_add_f64 v[4:5], v[4:5], s[6:7]
	s_mov_b32 s6, 0x652b82fe
	s_mov_b32 s7, 0xbff71547
	s_delay_alu instid0(SALU_CYCLE_1) | instskip(SKIP_2) | instid1(VALU_DEP_2)
	v_mul_f64 v[8:9], v[2:3], s[6:7]
	s_mov_b32 s6, 0x81e3e46f
	s_mov_b32 s7, 0x3e929159
	v_fma_f64 v[6:7], v[0:1], v[4:5], -v[6:7]
	s_delay_alu instid0(VALU_DEP_2) | instskip(NEXT) | instid1(VALU_DEP_2)
	v_rndne_f64_e32 v[8:9], v[8:9]
	v_add_f64 v[6:7], v[6:7], s[6:7]
	s_mov_b32 s6, 0xfefa39ef
	s_mov_b32 s7, 0xbfe62e42
	s_delay_alu instid0(VALU_DEP_2) | instid1(SALU_CYCLE_1)
	v_fma_f64 v[10:11], v[8:9], s[6:7], -v[2:3]
	s_mov_b32 s6, 0x3b39803f
	s_mov_b32 s7, 0xbc7abc9e
	v_cndmask_b32_e64 v2, 0, 0xffffff80, vcc_lo
	v_cmp_class_f64_e64 vcc_lo, v[14:15], 0x260
	s_delay_alu instid0(VALU_DEP_4) | instskip(NEXT) | instid1(VALU_DEP_4)
	v_fma_f64 v[4:5], v[0:1], v[6:7], -v[4:5]
	v_fma_f64 v[10:11], v[8:9], s[6:7], v[10:11]
	s_mov_b32 s6, 0x7f18d3a9
	s_mov_b32 s7, 0xbebebb54
	s_delay_alu instid0(VALU_DEP_2) | instid1(SALU_CYCLE_1)
	v_add_f64 v[4:5], v[4:5], s[6:7]
	s_mov_b32 s6, 0xfca7ab0c
	s_mov_b32 s7, 0x3e928af3
	s_delay_alu instid0(VALU_DEP_2) | instid1(SALU_CYCLE_1)
	v_fma_f64 v[12:13], v[10:11], s[8:9], s[6:7]
	s_mov_b32 s6, 0x623fde64
	s_mov_b32 s7, 0x3ec71dee
	s_delay_alu instid0(VALU_DEP_2) | instskip(NEXT) | instid1(VALU_DEP_2)
	v_fma_f64 v[6:7], v[0:1], v[4:5], -v[6:7]
	v_fma_f64 v[12:13], v[10:11], v[12:13], s[6:7]
	s_mov_b32 s6, 0xcc7470a9
	s_mov_b32 s7, 0x3eed413f
	s_delay_alu instid0(VALU_DEP_2) | instid1(SALU_CYCLE_1)
	v_add_f64 v[6:7], v[6:7], s[6:7]
	s_mov_b32 s6, 0x7c89e6b0
	s_mov_b32 s7, 0x3efa0199
	s_delay_alu instid0(VALU_DEP_2) | instid1(SALU_CYCLE_1)
	v_fma_f64 v[12:13], v[10:11], v[12:13], s[6:7]
	s_mov_b32 s6, 0x14761f6e
	s_mov_b32 s7, 0x3f2a01a0
	s_delay_alu instid0(VALU_DEP_2) | instskip(NEXT) | instid1(VALU_DEP_2)
	;; [unrolled: 13-line block ×4, first 2 shown]
	v_fma_f64 v[4:5], v[0:1], v[6:7], -v[4:5]
	v_fma_f64 v[12:13], v[10:11], v[12:13], s[6:7]
	s_mov_b32 s6, 0x2d4ff71e
	s_mov_b32 s7, 0xbfa019f7
	s_delay_alu instid0(VALU_DEP_2) | instid1(SALU_CYCLE_1)
	v_add_f64 v[4:5], v[4:5], s[6:7]
	s_mov_b32 s6, 11
	s_mov_b32 s7, 0x3fe00000
	s_delay_alu instid0(VALU_DEP_2) | instid1(SALU_CYCLE_1)
	v_fma_f64 v[12:13], v[10:11], v[12:13], s[6:7]
	s_mov_b32 s6, 0x9f4e6907
	s_mov_b32 s7, 0x400385bd
	s_delay_alu instid0(VALU_DEP_2) | instskip(SKIP_2) | instid1(VALU_DEP_4)
	v_fma_f64 v[0:1], v[0:1], v[4:5], -v[6:7]
	v_fma_f64 v[4:5], v[20:21], v[16:17], v[18:19]
	v_cvt_i32_f64_e32 v18, v[8:9]
	v_fma_f64 v[12:13], v[10:11], v[12:13], 1.0
	s_delay_alu instid0(VALU_DEP_4) | instskip(NEXT) | instid1(VALU_DEP_4)
	v_add_f64 v[0:1], v[0:1], s[6:7]
	v_fma_f64 v[8:9], -v[4:5], v[4:5], v[14:15]
	s_delay_alu instid0(VALU_DEP_3) | instskip(NEXT) | instid1(VALU_DEP_3)
	v_fma_f64 v[10:11], v[10:11], v[12:13], 1.0
	v_add_f64 v[0:1], v[0:1], -v[6:7]
	s_delay_alu instid0(VALU_DEP_3) | instskip(NEXT) | instid1(VALU_DEP_3)
	v_fma_f64 v[4:5], v[8:9], v[16:17], v[4:5]
	v_ldexp_f64 v[6:7], v[10:11], v18
	s_delay_alu instid0(VALU_DEP_3) | instskip(NEXT) | instid1(VALU_DEP_3)
	v_mul_f64 v[0:1], v[0:1], 0.5
	v_ldexp_f64 v[2:3], v[4:5], v2
	s_delay_alu instid0(VALU_DEP_3) | instskip(NEXT) | instid1(VALU_DEP_4)
	v_cndmask_b32_e64 v5, 0, v7, s0
	v_cndmask_b32_e64 v4, 0, v6, s0
	s_delay_alu instid0(VALU_DEP_1) | instskip(NEXT) | instid1(VALU_DEP_4)
	v_mul_f64 v[0:1], v[4:5], v[0:1]
	v_dual_cndmask_b32 v3, v3, v15 :: v_dual_cndmask_b32 v2, v2, v14
	s_delay_alu instid0(VALU_DEP_1) | instskip(NEXT) | instid1(VALU_DEP_1)
	v_div_scale_f64 v[4:5], null, v[2:3], v[2:3], v[0:1]
	v_rcp_f64_e32 v[6:7], v[4:5]
	s_waitcnt_depctr 0xfff
	v_fma_f64 v[8:9], -v[4:5], v[6:7], 1.0
	s_delay_alu instid0(VALU_DEP_1) | instskip(NEXT) | instid1(VALU_DEP_1)
	v_fma_f64 v[6:7], v[6:7], v[8:9], v[6:7]
	v_fma_f64 v[8:9], -v[4:5], v[6:7], 1.0
	s_delay_alu instid0(VALU_DEP_1) | instskip(SKIP_1) | instid1(VALU_DEP_1)
	v_fma_f64 v[6:7], v[6:7], v[8:9], v[6:7]
	v_div_scale_f64 v[8:9], vcc_lo, v[0:1], v[2:3], v[0:1]
	v_mul_f64 v[10:11], v[8:9], v[6:7]
	s_delay_alu instid0(VALU_DEP_1) | instskip(NEXT) | instid1(VALU_DEP_1)
	v_fma_f64 v[4:5], -v[4:5], v[10:11], v[8:9]
	v_div_fmas_f64 v[4:5], v[4:5], v[6:7], v[10:11]
	s_delay_alu instid0(VALU_DEP_1)
	v_div_fixup_f64 v[0:1], v[4:5], v[2:3], v[0:1]
.LBB8_61:
	s_or_b32 exec_lo, exec_lo, s4
.LBB8_62:
	s_delay_alu instid0(SALU_CYCLE_1)
	s_or_b32 exec_lo, exec_lo, s3
.LBB8_63:
	s_delay_alu instid0(SALU_CYCLE_1) | instskip(NEXT) | instid1(SALU_CYCLE_1)
	s_or_b32 exec_lo, exec_lo, s2
	s_or_b32 exec_lo, exec_lo, s1
	s_setpc_b64 s[30:31]
.LBB8_64:
	s_mov_b32 s0, exec_lo
                                        ; implicit-def: $vgpr2_vgpr3
	v_cmpx_lt_i16_e32 28, v4
	s_xor_b32 s0, exec_lo, s0
	s_cbranch_execz .LBB8_80
; %bb.65:
	s_mov_b32 s7, 0
	s_mov_b32 s1, exec_lo
                                        ; implicit-def: $vgpr2_vgpr3
	v_cmpx_lt_i16_e32 43, v4
	s_xor_b32 s1, exec_lo, s1
	s_cbranch_execz .LBB8_75
; %bb.66:
	s_mov_b32 s7, exec_lo
                                        ; implicit-def: $vgpr2_vgpr3
	v_cmpx_lt_i16_e32 45, v4
	s_xor_b32 s7, exec_lo, s7
	s_cbranch_execz .LBB8_70
; %bb.67:
	s_mov_b32 s8, -1
	s_mov_b32 s6, exec_lo
                                        ; implicit-def: $vgpr2_vgpr3
	v_cmpx_eq_u16_e32 46, v4
	s_cbranch_execz .LBB8_69
; %bb.68:
	flat_load_b32 v2, v[0:1]
	s_mov_b32 s4, exec_lo
	s_xor_b32 s8, exec_lo, -1
	s_waitcnt vmcnt(0) lgkmcnt(0)
	v_lshlrev_b32_e32 v2, 16, v2
	s_delay_alu instid0(VALU_DEP_1)
	v_cvt_f64_f32_e32 v[2:3], v2
.LBB8_69:
	s_or_b32 exec_lo, exec_lo, s6
	s_delay_alu instid0(SALU_CYCLE_1)
	s_and_b32 s6, s4, exec_lo
	s_and_b32 s4, s8, exec_lo
                                        ; implicit-def: $vgpr4
.LBB8_70:
	s_and_not1_saveexec_b32 s7, s7
	s_cbranch_execz .LBB8_74
; %bb.71:
	s_mov_b32 s9, -1
	s_mov_b32 s10, s6
	s_mov_b32 s8, exec_lo
                                        ; implicit-def: $vgpr2_vgpr3
	v_cmpx_eq_u16_e32 44, v4
	s_cbranch_execz .LBB8_73
; %bb.72:
	flat_load_u8 v4, v[0:1]
	s_or_b32 s10, s6, exec_lo
	s_xor_b32 s9, exec_lo, -1
	s_waitcnt vmcnt(0) lgkmcnt(0)
	v_cmp_ne_u32_e32 vcc_lo, 0xff, v4
	v_lshlrev_b32_e32 v2, 23, v4
	s_delay_alu instid0(VALU_DEP_1) | instskip(NEXT) | instid1(VALU_DEP_1)
	v_cvt_f64_f32_e32 v[2:3], v2
	v_cndmask_b32_e32 v3, 0x7ff80000, v3, vcc_lo
	s_delay_alu instid0(VALU_DEP_2) | instskip(SKIP_1) | instid1(VALU_DEP_3)
	v_cndmask_b32_e32 v2, 0x20000000, v2, vcc_lo
	v_cmp_ne_u32_e32 vcc_lo, 0, v4
	v_cndmask_b32_e32 v3, 0x38000000, v3, vcc_lo
	s_delay_alu instid0(VALU_DEP_3)
	v_cndmask_b32_e32 v2, 0, v2, vcc_lo
.LBB8_73:
	s_or_b32 exec_lo, exec_lo, s8
	s_delay_alu instid0(SALU_CYCLE_1)
	s_and_not1_b32 s6, s6, exec_lo
	s_and_b32 s8, s10, exec_lo
	s_and_not1_b32 s4, s4, exec_lo
	s_and_b32 s9, s9, exec_lo
	s_or_b32 s6, s6, s8
	s_or_b32 s4, s4, s9
.LBB8_74:
	s_or_b32 exec_lo, exec_lo, s7
	s_delay_alu instid0(SALU_CYCLE_1)
	s_and_b32 s7, s6, exec_lo
	s_and_b32 s6, s4, exec_lo
                                        ; implicit-def: $vgpr4
.LBB8_75:
	s_and_not1_saveexec_b32 s1, s1
	s_cbranch_execz .LBB8_79
; %bb.76:
	s_mov_b32 s4, -1
	s_mov_b32 s8, s7
	s_mov_b32 s9, exec_lo
                                        ; implicit-def: $vgpr2_vgpr3
	v_cmpx_eq_u16_e32 29, v4
	s_cbranch_execz .LBB8_78
; %bb.77:
	flat_load_b64 v[2:3], v[0:1]
	s_or_b32 s8, s7, exec_lo
	s_xor_b32 s4, exec_lo, -1
	s_waitcnt vmcnt(0) lgkmcnt(0)
	v_cvt_f64_u32_e32 v[3:4], v3
	v_cvt_f64_u32_e32 v[5:6], v2
	s_delay_alu instid0(VALU_DEP_2) | instskip(NEXT) | instid1(VALU_DEP_1)
	v_ldexp_f64 v[3:4], v[3:4], 32
	v_add_f64 v[2:3], v[3:4], v[5:6]
.LBB8_78:
	s_or_b32 exec_lo, exec_lo, s9
	s_delay_alu instid0(SALU_CYCLE_1)
	s_and_not1_b32 s7, s7, exec_lo
	s_and_b32 s8, s8, exec_lo
	s_and_not1_b32 s6, s6, exec_lo
	s_and_b32 s4, s4, exec_lo
	s_or_b32 s7, s7, s8
	s_or_b32 s6, s6, s4
.LBB8_79:
	s_or_b32 exec_lo, exec_lo, s1
	s_delay_alu instid0(SALU_CYCLE_1)
	s_and_b32 s4, s7, exec_lo
	s_and_b32 s6, s6, exec_lo
                                        ; implicit-def: $vgpr4
.LBB8_80:
	s_and_not1_saveexec_b32 s7, s0
	s_cbranch_execz .LBB8_98
; %bb.81:
	s_mov_b32 s0, exec_lo
                                        ; implicit-def: $vgpr2_vgpr3
	v_cmpx_lt_i16_e32 26, v4
	s_xor_b32 s0, exec_lo, s0
	s_cbranch_execz .LBB8_87
; %bb.82:
	s_mov_b32 s1, exec_lo
                                        ; implicit-def: $vgpr2_vgpr3
	v_cmpx_lt_i16_e32 27, v4
	s_xor_b32 s1, exec_lo, s1
	s_cbranch_execz .LBB8_84
; %bb.83:
	flat_load_b32 v2, v[0:1]
	s_waitcnt vmcnt(0) lgkmcnt(0)
	v_cvt_f64_u32_e32 v[2:3], v2
.LBB8_84:
	s_and_not1_saveexec_b32 s1, s1
	s_cbranch_execz .LBB8_86
; %bb.85:
	flat_load_u16 v2, v[0:1]
	s_waitcnt vmcnt(0) lgkmcnt(0)
	v_cvt_f64_u32_e32 v[2:3], v2
.LBB8_86:
	s_or_b32 exec_lo, exec_lo, s1
.LBB8_87:
	s_and_not1_saveexec_b32 s8, s0
	s_cbranch_execz .LBB8_97
; %bb.88:
	flat_load_u8 v4, v[0:1]
	s_mov_b32 s9, 0
	s_mov_b32 s10, exec_lo
                                        ; implicit-def: $sgpr0_sgpr1
	s_waitcnt vmcnt(0) lgkmcnt(0)
	v_cmpx_lt_i16_e32 0x7f, v4
	s_xor_b32 s10, exec_lo, s10
	s_cbranch_execz .LBB8_92
; %bb.89:
	s_mov_b32 s11, -1
	s_mov_b32 s9, exec_lo
                                        ; implicit-def: $sgpr0_sgpr1
	v_cmpx_eq_u16_e32 0x80, v4
; %bb.90:
	s_mov_b32 s1, 0x7ff80000
	s_brev_b32 s0, 4
	s_xor_b32 s11, exec_lo, -1
; %bb.91:
	s_or_b32 exec_lo, exec_lo, s9
	s_delay_alu instid0(SALU_CYCLE_1)
	s_and_b32 s9, s11, exec_lo
.LBB8_92:
	s_or_saveexec_b32 s10, s10
	v_dual_mov_b32 v3, s1 :: v_dual_mov_b32 v2, s0
	s_xor_b32 exec_lo, exec_lo, s10
; %bb.93:
	v_cmp_ne_u16_e32 vcc_lo, 0, v4
	v_mov_b32_e32 v2, 0
	v_mov_b32_e32 v3, 0
	s_and_not1_b32 s0, s9, exec_lo
	s_and_b32 s1, vcc_lo, exec_lo
	s_delay_alu instid0(SALU_CYCLE_1)
	s_or_b32 s9, s0, s1
; %bb.94:
	s_or_b32 exec_lo, exec_lo, s10
	s_and_saveexec_b32 s0, s9
	s_cbranch_execz .LBB8_96
; %bb.95:
	v_and_b32_e32 v2, 0xffff, v4
	v_lshlrev_b32_e32 v4, 24, v4
	s_delay_alu instid0(VALU_DEP_2) | instskip(NEXT) | instid1(VALU_DEP_2)
	v_and_b32_e32 v3, 7, v2
	v_and_b32_e32 v4, 0x80000000, v4
	s_delay_alu instid0(VALU_DEP_2) | instskip(NEXT) | instid1(VALU_DEP_1)
	v_clz_i32_u32_e32 v5, v3
	v_min_u32_e32 v5, 32, v5
	s_delay_alu instid0(VALU_DEP_1) | instskip(SKIP_1) | instid1(VALU_DEP_2)
	v_subrev_nc_u32_e32 v6, 28, v5
	v_sub_nc_u32_e32 v5, 29, v5
	v_lshlrev_b32_e32 v6, v6, v2
	v_bfe_u32 v2, v2, 3, 4
	s_delay_alu instid0(VALU_DEP_2) | instskip(NEXT) | instid1(VALU_DEP_2)
	v_and_b32_e32 v6, 7, v6
	v_cmp_eq_u32_e32 vcc_lo, 0, v2
	s_delay_alu instid0(VALU_DEP_2) | instskip(NEXT) | instid1(VALU_DEP_1)
	v_dual_cndmask_b32 v2, v2, v5 :: v_dual_cndmask_b32 v3, v3, v6
	v_lshl_add_u32 v2, v2, 23, 0x3b800000
	s_delay_alu instid0(VALU_DEP_2) | instskip(NEXT) | instid1(VALU_DEP_1)
	v_lshlrev_b32_e32 v3, 20, v3
	v_or3_b32 v2, v4, v2, v3
	s_delay_alu instid0(VALU_DEP_1)
	v_cvt_f64_f32_e32 v[2:3], v2
.LBB8_96:
	s_or_b32 exec_lo, exec_lo, s0
.LBB8_97:
	s_delay_alu instid0(SALU_CYCLE_1) | instskip(NEXT) | instid1(SALU_CYCLE_1)
	s_or_b32 exec_lo, exec_lo, s8
	s_or_b32 s4, s4, exec_lo
.LBB8_98:
	s_or_b32 exec_lo, exec_lo, s7
	s_delay_alu instid0(SALU_CYCLE_1)
	s_and_b32 s4, s4, exec_lo
	s_and_b32 s6, s6, exec_lo
                                        ; implicit-def: $vgpr4
	s_and_not1_saveexec_b32 s5, s5
	s_cbranch_execz .LBB8_3
.LBB8_99:
	s_mov_b32 s0, s4
                                        ; implicit-def: $vgpr2_vgpr3
	s_mov_b32 s1, exec_lo
	v_cmpx_lt_i16_e32 22, v4
	s_xor_b32 s3, exec_lo, s1
	s_cbranch_execz .LBB8_117
; %bb.100:
                                        ; implicit-def: $vgpr2_vgpr3
	s_mov_b32 s0, exec_lo
	v_cmpx_lt_i16_e32 23, v4
	s_xor_b32 s7, exec_lo, s0
	s_cbranch_execz .LBB8_114
; %bb.101:
	;; [unrolled: 6-line block ×3, first 2 shown]
	flat_load_u8 v4, v[0:1]
	s_mov_b32 s9, 0
	s_mov_b32 s10, exec_lo
                                        ; implicit-def: $sgpr0_sgpr1
	s_waitcnt vmcnt(0) lgkmcnt(0)
	v_cmpx_lt_i16_e32 0x7f, v4
	s_xor_b32 s10, exec_lo, s10
	s_cbranch_execz .LBB8_106
; %bb.103:
	s_mov_b32 s11, -1
	s_mov_b32 s9, exec_lo
                                        ; implicit-def: $sgpr0_sgpr1
	v_cmpx_eq_u16_e32 0x80, v4
; %bb.104:
	s_mov_b32 s1, 0x7ff80000
	s_brev_b32 s0, 4
	s_xor_b32 s11, exec_lo, -1
; %bb.105:
	s_or_b32 exec_lo, exec_lo, s9
	s_delay_alu instid0(SALU_CYCLE_1)
	s_and_b32 s9, s11, exec_lo
.LBB8_106:
	s_or_saveexec_b32 s10, s10
	v_dual_mov_b32 v3, s1 :: v_dual_mov_b32 v2, s0
	s_xor_b32 exec_lo, exec_lo, s10
; %bb.107:
	v_cmp_ne_u16_e32 vcc_lo, 0, v4
	v_mov_b32_e32 v2, 0
	v_mov_b32_e32 v3, 0
	s_and_not1_b32 s0, s9, exec_lo
	s_and_b32 s1, vcc_lo, exec_lo
	s_delay_alu instid0(SALU_CYCLE_1)
	s_or_b32 s9, s0, s1
; %bb.108:
	s_or_b32 exec_lo, exec_lo, s10
	s_and_saveexec_b32 s0, s9
	s_cbranch_execz .LBB8_110
; %bb.109:
	v_and_b32_e32 v2, 0xffff, v4
	v_lshlrev_b32_e32 v4, 24, v4
	s_delay_alu instid0(VALU_DEP_2) | instskip(NEXT) | instid1(VALU_DEP_2)
	v_and_b32_e32 v3, 3, v2
	v_and_b32_e32 v4, 0x80000000, v4
	s_delay_alu instid0(VALU_DEP_2) | instskip(NEXT) | instid1(VALU_DEP_1)
	v_clz_i32_u32_e32 v5, v3
	v_min_u32_e32 v5, 32, v5
	s_delay_alu instid0(VALU_DEP_1) | instskip(SKIP_1) | instid1(VALU_DEP_2)
	v_subrev_nc_u32_e32 v6, 29, v5
	v_sub_nc_u32_e32 v5, 30, v5
	v_lshlrev_b32_e32 v6, v6, v2
	v_bfe_u32 v2, v2, 2, 5
	s_delay_alu instid0(VALU_DEP_2) | instskip(NEXT) | instid1(VALU_DEP_2)
	v_and_b32_e32 v6, 3, v6
	v_cmp_eq_u32_e32 vcc_lo, 0, v2
	s_delay_alu instid0(VALU_DEP_2) | instskip(NEXT) | instid1(VALU_DEP_1)
	v_dual_cndmask_b32 v2, v2, v5 :: v_dual_cndmask_b32 v3, v3, v6
	v_lshl_add_u32 v2, v2, 23, 0x37800000
	s_delay_alu instid0(VALU_DEP_2) | instskip(NEXT) | instid1(VALU_DEP_1)
	v_lshlrev_b32_e32 v3, 21, v3
	v_or3_b32 v2, v4, v2, v3
	s_delay_alu instid0(VALU_DEP_1)
	v_cvt_f64_f32_e32 v[2:3], v2
.LBB8_110:
	s_or_b32 exec_lo, exec_lo, s0
.LBB8_111:
	s_and_not1_saveexec_b32 s0, s8
	s_cbranch_execz .LBB8_113
; %bb.112:
	flat_load_u8 v2, v[0:1]
	s_waitcnt vmcnt(0) lgkmcnt(0)
	v_lshlrev_b32_e32 v2, 24, v2
	s_delay_alu instid0(VALU_DEP_1) | instskip(NEXT) | instid1(VALU_DEP_1)
	v_and_b32_e32 v3, 0x7f000000, v2
	v_clz_i32_u32_e32 v4, v3
	v_add_nc_u32_e32 v6, 0x1000000, v3
	v_cmp_ne_u32_e32 vcc_lo, 0, v3
	s_delay_alu instid0(VALU_DEP_3) | instskip(NEXT) | instid1(VALU_DEP_1)
	v_min_u32_e32 v4, 32, v4
	v_sub_nc_u32_e64 v4, v4, 4 clamp
	s_delay_alu instid0(VALU_DEP_1) | instskip(SKIP_1) | instid1(VALU_DEP_2)
	v_lshlrev_b32_e32 v5, v4, v3
	v_lshlrev_b32_e32 v4, 23, v4
	v_lshrrev_b32_e32 v5, 4, v5
	s_delay_alu instid0(VALU_DEP_1) | instskip(SKIP_1) | instid1(VALU_DEP_2)
	v_sub_nc_u32_e32 v4, v5, v4
	v_ashrrev_i32_e32 v5, 8, v6
	v_add_nc_u32_e32 v4, 0x3c000000, v4
	s_delay_alu instid0(VALU_DEP_1) | instskip(NEXT) | instid1(VALU_DEP_1)
	v_and_or_b32 v4, 0x7f800000, v5, v4
	v_cndmask_b32_e32 v3, 0, v4, vcc_lo
	s_delay_alu instid0(VALU_DEP_1) | instskip(NEXT) | instid1(VALU_DEP_1)
	v_and_or_b32 v2, 0x80000000, v2, v3
	v_cvt_f64_f32_e32 v[2:3], v2
.LBB8_113:
	s_or_b32 exec_lo, exec_lo, s0
.LBB8_114:
	s_and_not1_saveexec_b32 s0, s7
	s_cbranch_execz .LBB8_116
; %bb.115:
	flat_load_u8 v2, v[0:1]
	s_waitcnt vmcnt(0) lgkmcnt(0)
	v_lshlrev_b32_e32 v3, 25, v2
	v_lshlrev_b16 v2, 8, v2
	s_delay_alu instid0(VALU_DEP_2) | instskip(NEXT) | instid1(VALU_DEP_2)
	v_lshrrev_b32_e32 v4, 4, v3
	v_and_or_b32 v5, 0x7f00, v2, 0.5
	v_bfe_i32 v2, v2, 0, 16
	s_delay_alu instid0(VALU_DEP_3) | instskip(NEXT) | instid1(VALU_DEP_1)
	v_or_b32_e32 v4, 0x70000000, v4
	v_dual_add_f32 v5, -0.5, v5 :: v_dual_mul_f32 v4, 0x7800000, v4
	v_cmp_gt_u32_e32 vcc_lo, 0x8000000, v3
	s_delay_alu instid0(VALU_DEP_2) | instskip(NEXT) | instid1(VALU_DEP_1)
	v_cndmask_b32_e32 v3, v4, v5, vcc_lo
	v_and_or_b32 v2, 0x80000000, v2, v3
	s_delay_alu instid0(VALU_DEP_1)
	v_cvt_f64_f32_e32 v[2:3], v2
.LBB8_116:
	s_or_b32 exec_lo, exec_lo, s0
	s_delay_alu instid0(SALU_CYCLE_1)
	s_or_b32 s0, s4, exec_lo
                                        ; implicit-def: $vgpr4
.LBB8_117:
	s_or_saveexec_b32 s1, s3
	s_mov_b32 s3, 0
	s_mov_b32 s7, s6
	s_xor_b32 exec_lo, exec_lo, s1
	s_cbranch_execz .LBB8_125
; %bb.118:
	s_mov_b32 s3, s6
	s_mov_b32 s7, s0
	s_mov_b32 s8, exec_lo
                                        ; implicit-def: $vgpr2_vgpr3
	v_cmpx_lt_i16_e32 14, v4
	s_xor_b32 s8, exec_lo, s8
	s_cbranch_execz .LBB8_122
; %bb.119:
	s_mov_b32 s3, -1
	s_mov_b32 s7, s0
	s_mov_b32 s9, exec_lo
                                        ; implicit-def: $vgpr2_vgpr3
	v_cmpx_eq_u16_e32 15, v4
	s_cbranch_execz .LBB8_121
; %bb.120:
	flat_load_u16 v2, v[0:1]
	s_or_b32 s7, s0, exec_lo
	s_xor_b32 s3, exec_lo, -1
	s_waitcnt vmcnt(0) lgkmcnt(0)
	v_lshlrev_b32_e32 v2, 16, v2
	s_delay_alu instid0(VALU_DEP_1)
	v_cvt_f64_f32_e32 v[2:3], v2
.LBB8_121:
	s_or_b32 exec_lo, exec_lo, s9
	s_delay_alu instid0(SALU_CYCLE_1)
	s_and_not1_b32 s9, s0, exec_lo
	s_and_b32 s7, s7, exec_lo
	s_and_not1_b32 s10, s6, exec_lo
	s_and_b32 s3, s3, exec_lo
	s_or_b32 s7, s9, s7
	s_or_b32 s3, s10, s3
                                        ; implicit-def: $vgpr4
.LBB8_122:
	s_or_saveexec_b32 s8, s8
	s_mov_b32 s9, 0
	s_xor_b32 exec_lo, exec_lo, s8
; %bb.123:
	v_cmp_ne_u16_e32 vcc_lo, 11, v4
	s_and_not1_b32 s3, s3, exec_lo
	s_mov_b32 s9, exec_lo
                                        ; implicit-def: $vgpr2_vgpr3
	s_and_b32 s10, vcc_lo, exec_lo
	s_delay_alu instid0(SALU_CYCLE_1)
	s_or_b32 s3, s3, s10
; %bb.124:
	s_or_b32 exec_lo, exec_lo, s8
	s_delay_alu instid0(SALU_CYCLE_1)
	s_and_not1_b32 s0, s0, exec_lo
	s_and_b32 s7, s7, exec_lo
	s_and_b32 s8, s3, exec_lo
	s_or_b32 s0, s0, s7
	s_and_not1_b32 s7, s6, exec_lo
	s_and_b32 s3, s9, exec_lo
	s_or_b32 s7, s7, s8
.LBB8_125:
	s_or_b32 exec_lo, exec_lo, s1
	s_delay_alu instid0(SALU_CYCLE_1)
	s_and_not1_b32 s1, s4, exec_lo
	s_and_b32 s0, s0, exec_lo
	s_and_b32 s3, s3, exec_lo
	s_or_b32 s4, s1, s0
	s_and_not1_b32 s0, s6, exec_lo
	s_and_b32 s1, s7, exec_lo
	s_delay_alu instid0(SALU_CYCLE_1)
	s_or_b32 s6, s0, s1
	s_or_b32 exec_lo, exec_lo, s5
	s_and_saveexec_b32 s0, s6
	s_cbranch_execz .LBB8_4
.LBB8_126:
	s_cbranch_execnz .LBB8_128
; %bb.127:
	; divergent unreachable
	s_and_not1_b32 s3, s3, exec_lo
                                        ; implicit-def: $vgpr2_vgpr3
	s_or_b32 exec_lo, exec_lo, s0
	s_and_saveexec_b32 s0, s3
	s_delay_alu instid0(SALU_CYCLE_1)
	s_xor_b32 s0, exec_lo, s0
	s_cbranch_execnz .LBB8_5
	s_branch .LBB8_6
.LBB8_128:
	s_trap 2
	s_sendmsg_rtn_b32 s0, sendmsg(MSG_RTN_GET_DOORBELL)
	s_mov_b32 ttmp2, m0
	s_waitcnt lgkmcnt(0)
	s_and_b32 s0, s0, 0x3ff
	s_delay_alu instid0(SALU_CYCLE_1) | instskip(NEXT) | instid1(SALU_CYCLE_1)
	s_bitset1_b32 s0, 10
	s_mov_b32 m0, s0
	s_sendmsg sendmsg(MSG_INTERRUPT)
	s_mov_b32 m0, ttmp2
.LBB8_129:                              ; =>This Inner Loop Header: Depth=1
	s_sethalt 5
	s_branch .LBB8_129
.Lfunc_end8:
	.size	_ZN2at6native6invokeIZZZNS0_12_GLOBAL__N_130modified_bessel_k0_kernel_cudaERNS_18TensorIteratorBaseEENKUlvE_clEvENKUlvE_clEvEUldE_i15function_traitsIS7_EEENT1_11result_typeERKT_PrKPcPKT0_PKN3c1010ScalarTypeEi, .Lfunc_end8-_ZN2at6native6invokeIZZZNS0_12_GLOBAL__N_130modified_bessel_k0_kernel_cudaERNS_18TensorIteratorBaseEENKUlvE_clEvENKUlvE_clEvEUldE_i15function_traitsIS7_EEENT1_11result_typeERKT_PrKPcPKT0_PKN3c1010ScalarTypeEi
                                        ; -- End function
	.section	.AMDGPU.csdata,"",@progbits
; Function info:
; codeLenInByte = 8828
; NumSgprs: 34
; NumVgprs: 28
; ScratchSize: 0
; MemoryBound: 1
	.section	.text._ZN2at6native32elementwise_kernel_manual_unrollILi128ELi4EZNS0_15gpu_kernel_implIZZZNS0_12_GLOBAL__N_130modified_bessel_k0_kernel_cudaERNS_18TensorIteratorBaseEENKUlvE_clEvENKUlvE_clEvEUldE_EEvS5_RKT_EUlibE_EEviT1_,"axG",@progbits,_ZN2at6native32elementwise_kernel_manual_unrollILi128ELi4EZNS0_15gpu_kernel_implIZZZNS0_12_GLOBAL__N_130modified_bessel_k0_kernel_cudaERNS_18TensorIteratorBaseEENKUlvE_clEvENKUlvE_clEvEUldE_EEvS5_RKT_EUlibE_EEviT1_,comdat
	.globl	_ZN2at6native32elementwise_kernel_manual_unrollILi128ELi4EZNS0_15gpu_kernel_implIZZZNS0_12_GLOBAL__N_130modified_bessel_k0_kernel_cudaERNS_18TensorIteratorBaseEENKUlvE_clEvENKUlvE_clEvEUldE_EEvS5_RKT_EUlibE_EEviT1_ ; -- Begin function _ZN2at6native32elementwise_kernel_manual_unrollILi128ELi4EZNS0_15gpu_kernel_implIZZZNS0_12_GLOBAL__N_130modified_bessel_k0_kernel_cudaERNS_18TensorIteratorBaseEENKUlvE_clEvENKUlvE_clEvEUldE_EEvS5_RKT_EUlibE_EEviT1_
	.p2align	8
	.type	_ZN2at6native32elementwise_kernel_manual_unrollILi128ELi4EZNS0_15gpu_kernel_implIZZZNS0_12_GLOBAL__N_130modified_bessel_k0_kernel_cudaERNS_18TensorIteratorBaseEENKUlvE_clEvENKUlvE_clEvEUldE_EEvS5_RKT_EUlibE_EEviT1_,@function
_ZN2at6native32elementwise_kernel_manual_unrollILi128ELi4EZNS0_15gpu_kernel_implIZZZNS0_12_GLOBAL__N_130modified_bessel_k0_kernel_cudaERNS_18TensorIteratorBaseEENKUlvE_clEvENKUlvE_clEvEUldE_EEvS5_RKT_EUlibE_EEviT1_: ; @_ZN2at6native32elementwise_kernel_manual_unrollILi128ELi4EZNS0_15gpu_kernel_implIZZZNS0_12_GLOBAL__N_130modified_bessel_k0_kernel_cudaERNS_18TensorIteratorBaseEENKUlvE_clEvENKUlvE_clEvEUldE_EEvS5_RKT_EUlibE_EEviT1_
; %bb.0:
	v_mov_b32_e32 v1, 0
	s_clause 0x2
	s_load_b32 s21, s[0:1], 0x0
	s_load_b64 s[12:13], s[0:1], 0x18
	s_load_b128 s[16:19], s[0:1], 0x8
	v_lshl_or_b32 v34, s15, 9, v0
	s_mov_b32 s14, 0
	s_mov_b32 s20, 0
	global_load_u16 v37, v1, s[0:1] offset:33
	s_mov_b32 s32, 0
	v_or_b32_e32 v36, 0x180, v34
	s_mov_b32 s0, exec_lo
	s_waitcnt vmcnt(0)
	v_lshrrev_b16 v35, 8, v37
	s_waitcnt lgkmcnt(0)
	v_cmpx_le_i32_e64 s21, v36
	s_xor_b32 s15, exec_lo, s0
	s_cbranch_execz .LBB9_175
; %bb.1:
	s_mov_b32 s0, -1
	s_mov_b32 s23, 0
	s_mov_b32 s22, exec_lo
	v_cmpx_gt_i32_e64 s21, v34
                                        ; implicit-def: $vgpr2_vgpr3
	s_cbranch_execz .LBB9_124
; %bb.2:
	v_dual_mov_b32 v0, s18 :: v_dual_mov_b32 v1, s19
	v_dual_mov_b32 v2, s13 :: v_dual_mov_b32 v3, v35
	v_mov_b32_e32 v4, v34
	s_getpc_b64 s[0:1]
	s_add_u32 s0, s0, _ZN2at6native6invokeIZZZNS0_12_GLOBAL__N_130modified_bessel_k0_kernel_cudaERNS_18TensorIteratorBaseEENKUlvE_clEvENKUlvE_clEvEUldE_i15function_traitsIS7_EEENT1_11result_typeERKT_PrKPcPKT0_PKN3c1010ScalarTypeEi@rel32@lo+4
	s_addc_u32 s1, s1, _ZN2at6native6invokeIZZZNS0_12_GLOBAL__N_130modified_bessel_k0_kernel_cudaERNS_18TensorIteratorBaseEENKUlvE_clEvENKUlvE_clEvEUldE_i15function_traitsIS7_EEENT1_11result_typeERKT_PrKPcPKT0_PKN3c1010ScalarTypeEi@rel32@hi+12
	s_delay_alu instid0(SALU_CYCLE_1) | instskip(SKIP_2) | instid1(VALU_DEP_1)
	s_swappc_b64 s[30:31], s[0:1]
	v_mul_lo_u32 v2, v34, s12
	v_and_b32_e32 v6, 0xff, v37
	v_cmp_gt_i16_e32 vcc_lo, 11, v6
	s_delay_alu instid0(VALU_DEP_3) | instskip(SKIP_1) | instid1(VALU_DEP_1)
	v_ashrrev_i32_e32 v3, 31, v2
	v_add_co_u32 v4, s0, s16, v2
	v_add_co_ci_u32_e64 v5, s0, s17, v3, s0
	s_cbranch_vccnz .LBB9_9
; %bb.3:
	v_cmp_lt_i16_e32 vcc_lo, 25, v6
	s_cbranch_vccz .LBB9_12
; %bb.4:
	v_cmp_lt_i16_e32 vcc_lo, 28, v6
	s_cbranch_vccz .LBB9_13
	;; [unrolled: 3-line block ×4, first 2 shown]
; %bb.7:
	v_cmp_eq_u16_e32 vcc_lo, 46, v6
	s_mov_b32 s2, 0
	s_mov_b32 s0, -1
	s_mov_b32 s1, 0
	s_cbranch_vccz .LBB9_16
; %bb.8:
	v_cvt_f32_f64_e32 v2, v[0:1]
	s_mov_b32 s1, -1
	s_mov_b32 s0, 0
	s_delay_alu instid0(VALU_DEP_1) | instskip(SKIP_1) | instid1(VALU_DEP_2)
	v_bfe_u32 v3, v2, 16, 1
	v_cmp_o_f32_e32 vcc_lo, v2, v2
	v_add3_u32 v3, v2, v3, 0x7fff
	s_delay_alu instid0(VALU_DEP_1) | instskip(NEXT) | instid1(VALU_DEP_1)
	v_lshrrev_b32_e32 v3, 16, v3
	v_cndmask_b32_e32 v2, 0x7fc0, v3, vcc_lo
	global_store_b32 v[4:5], v2, off
	s_branch .LBB9_16
.LBB9_9:
	s_mov_b32 s0, 0
	s_mov_b32 s1, 0
	s_cbranch_execnz .LBB9_84
.LBB9_10:
	s_and_not1_b32 vcc_lo, exec_lo, s1
	s_cbranch_vccnz .LBB9_122
.LBB9_11:
	v_add_nc_u32_e32 v34, 0x80, v34
	s_mov_b32 s1, -1
	s_branch .LBB9_123
.LBB9_12:
	s_mov_b32 s0, 0
	s_mov_b32 s1, 0
	s_cbranch_execnz .LBB9_43
	s_branch .LBB9_83
.LBB9_13:
	s_mov_b32 s2, -1
	s_mov_b32 s0, 0
	s_mov_b32 s1, 0
	s_branch .LBB9_26
.LBB9_14:
	s_mov_b32 s2, -1
	s_mov_b32 s0, 0
	s_mov_b32 s1, 0
	s_branch .LBB9_22
.LBB9_15:
	s_mov_b32 s2, -1
	s_mov_b32 s0, 0
	s_mov_b32 s1, 0
.LBB9_16:
	s_and_b32 vcc_lo, exec_lo, s2
	s_cbranch_vccz .LBB9_21
; %bb.17:
	v_cmp_eq_u16_e32 vcc_lo, 44, v6
	s_mov_b32 s0, -1
	s_cbranch_vccz .LBB9_21
; %bb.18:
	v_cvt_f32_f64_e32 v2, v[0:1]
	v_mov_b32_e32 v3, 0xff
	s_mov_b32 s1, exec_lo
	s_delay_alu instid0(VALU_DEP_2) | instskip(NEXT) | instid1(VALU_DEP_1)
	v_bfe_u32 v7, v2, 23, 8
	v_cmpx_ne_u32_e32 0xff, v7
; %bb.19:
	v_and_b32_e32 v3, 0x400000, v2
	v_and_or_b32 v7, 0x3fffff, v2, v7
	v_lshrrev_b32_e32 v2, 23, v2
	s_delay_alu instid0(VALU_DEP_3) | instskip(NEXT) | instid1(VALU_DEP_3)
	v_cmp_ne_u32_e32 vcc_lo, 0, v3
	v_cmp_ne_u32_e64 s0, 0, v7
	s_delay_alu instid0(VALU_DEP_1) | instskip(NEXT) | instid1(SALU_CYCLE_1)
	s_and_b32 s0, vcc_lo, s0
	v_cndmask_b32_e64 v3, 0, 1, s0
	s_delay_alu instid0(VALU_DEP_1)
	v_add_nc_u32_e32 v3, v2, v3
; %bb.20:
	s_or_b32 exec_lo, exec_lo, s1
	s_mov_b32 s1, -1
	s_mov_b32 s0, 0
	global_store_b8 v[4:5], v3, off
.LBB9_21:
	s_mov_b32 s2, 0
.LBB9_22:
	s_delay_alu instid0(SALU_CYCLE_1)
	s_and_b32 vcc_lo, exec_lo, s2
	s_cbranch_vccz .LBB9_25
; %bb.23:
	v_cmp_eq_u16_e32 vcc_lo, 29, v6
	s_mov_b32 s0, -1
	s_cbranch_vccz .LBB9_25
; %bb.24:
	v_trunc_f64_e32 v[2:3], v[0:1]
	s_mov_b32 s1, -1
	s_mov_b32 s0, 0
	s_mov_b32 s2, 0
	s_delay_alu instid0(VALU_DEP_1) | instskip(NEXT) | instid1(VALU_DEP_1)
	v_ldexp_f64 v[7:8], v[2:3], 0xffffffe0
	v_floor_f64_e32 v[7:8], v[7:8]
	s_delay_alu instid0(VALU_DEP_1) | instskip(SKIP_1) | instid1(VALU_DEP_2)
	v_fma_f64 v[2:3], 0xc1f00000, v[7:8], v[2:3]
	v_cvt_u32_f64_e32 v8, v[7:8]
	v_cvt_u32_f64_e32 v7, v[2:3]
	global_store_b64 v[4:5], v[7:8], off
	s_branch .LBB9_26
.LBB9_25:
	s_mov_b32 s2, 0
.LBB9_26:
	s_delay_alu instid0(SALU_CYCLE_1)
	s_and_b32 vcc_lo, exec_lo, s2
	s_cbranch_vccz .LBB9_42
; %bb.27:
	v_cmp_gt_i16_e32 vcc_lo, 27, v6
	s_mov_b32 s1, -1
	s_cbranch_vccnz .LBB9_33
; %bb.28:
	v_cvt_u32_f64_e32 v2, v[0:1]
	v_cmp_lt_i16_e32 vcc_lo, 27, v6
	s_cbranch_vccz .LBB9_30
; %bb.29:
	s_mov_b32 s1, 0
	global_store_b32 v[4:5], v2, off
.LBB9_30:
	s_and_not1_b32 vcc_lo, exec_lo, s1
	s_cbranch_vccnz .LBB9_32
; %bb.31:
	global_store_b16 v[4:5], v2, off
.LBB9_32:
	s_mov_b32 s1, 0
.LBB9_33:
	s_delay_alu instid0(SALU_CYCLE_1)
	s_and_not1_b32 vcc_lo, exec_lo, s1
	s_cbranch_vccnz .LBB9_41
; %bb.34:
	v_cvt_f32_f64_e32 v2, v[0:1]
	v_mov_b32_e32 v7, 0x80
	s_mov_b32 s1, exec_lo
	s_delay_alu instid0(VALU_DEP_2) | instskip(NEXT) | instid1(VALU_DEP_1)
	v_and_b32_e32 v3, 0x7fffffff, v2
	v_cmpx_gt_u32_e32 0x43800000, v3
	s_cbranch_execz .LBB9_40
; %bb.35:
	v_cmp_lt_u32_e32 vcc_lo, 0x3bffffff, v3
	s_mov_b32 s2, 0
                                        ; implicit-def: $vgpr3
	s_and_saveexec_b32 s3, vcc_lo
	s_delay_alu instid0(SALU_CYCLE_1)
	s_xor_b32 s3, exec_lo, s3
	s_cbranch_execz .LBB9_661
; %bb.36:
	v_bfe_u32 v3, v2, 20, 1
	s_mov_b32 s2, exec_lo
	s_delay_alu instid0(VALU_DEP_1) | instskip(NEXT) | instid1(VALU_DEP_1)
	v_add3_u32 v3, v2, v3, 0x487ffff
	v_lshrrev_b32_e32 v3, 20, v3
	s_or_saveexec_b32 s3, s3
                                        ; implicit-def: $sgpr4
	s_delay_alu instid0(SALU_CYCLE_1)
	s_xor_b32 exec_lo, exec_lo, s3
	s_cbranch_execnz .LBB9_662
.LBB9_37:
	s_or_b32 exec_lo, exec_lo, s3
	v_mov_b32_e32 v7, s4
	s_and_saveexec_b32 s3, s2
.LBB9_38:
	v_lshrrev_b32_e32 v2, 24, v2
	s_delay_alu instid0(VALU_DEP_1)
	v_and_or_b32 v7, 0x80, v2, v3
.LBB9_39:
	s_or_b32 exec_lo, exec_lo, s3
.LBB9_40:
	s_delay_alu instid0(SALU_CYCLE_1)
	s_or_b32 exec_lo, exec_lo, s1
	global_store_b8 v[4:5], v7, off
.LBB9_41:
	s_mov_b32 s1, -1
.LBB9_42:
	s_branch .LBB9_83
.LBB9_43:
	v_cmp_lt_i16_e32 vcc_lo, 22, v6
	s_mov_b32 s2, -1
	s_cbranch_vccz .LBB9_75
; %bb.44:
	v_cmp_gt_i16_e32 vcc_lo, 24, v6
	s_mov_b32 s1, -1
	s_cbranch_vccnz .LBB9_64
; %bb.45:
	v_cmp_lt_i16_e32 vcc_lo, 24, v6
	s_cbranch_vccz .LBB9_53
; %bb.46:
	v_cvt_f32_f64_e32 v2, v[0:1]
	v_mov_b32_e32 v7, 0x80
	s_mov_b32 s1, exec_lo
	s_delay_alu instid0(VALU_DEP_2) | instskip(NEXT) | instid1(VALU_DEP_1)
	v_and_b32_e32 v3, 0x7fffffff, v2
	v_cmpx_gt_u32_e32 0x47800000, v3
	s_cbranch_execz .LBB9_52
; %bb.47:
	v_cmp_lt_u32_e32 vcc_lo, 0x37ffffff, v3
	s_mov_b32 s2, 0
                                        ; implicit-def: $vgpr3
	s_and_saveexec_b32 s3, vcc_lo
	s_delay_alu instid0(SALU_CYCLE_1)
	s_xor_b32 s3, exec_lo, s3
	s_cbranch_execz .LBB9_672
; %bb.48:
	v_bfe_u32 v3, v2, 21, 1
	s_mov_b32 s2, exec_lo
	s_delay_alu instid0(VALU_DEP_1) | instskip(NEXT) | instid1(VALU_DEP_1)
	v_add3_u32 v3, v2, v3, 0x88fffff
	v_lshrrev_b32_e32 v3, 21, v3
	s_or_saveexec_b32 s3, s3
                                        ; implicit-def: $sgpr4
	s_delay_alu instid0(SALU_CYCLE_1)
	s_xor_b32 exec_lo, exec_lo, s3
	s_cbranch_execnz .LBB9_673
.LBB9_49:
	s_or_b32 exec_lo, exec_lo, s3
	v_mov_b32_e32 v7, s4
	s_and_saveexec_b32 s3, s2
.LBB9_50:
	v_lshrrev_b32_e32 v2, 24, v2
	s_delay_alu instid0(VALU_DEP_1)
	v_and_or_b32 v7, 0x80, v2, v3
.LBB9_51:
	s_or_b32 exec_lo, exec_lo, s3
.LBB9_52:
	s_delay_alu instid0(SALU_CYCLE_1)
	s_or_b32 exec_lo, exec_lo, s1
	s_mov_b32 s1, 0
	global_store_b8 v[4:5], v7, off
.LBB9_53:
	s_and_b32 vcc_lo, exec_lo, s1
	s_cbranch_vccz .LBB9_63
; %bb.54:
	v_cvt_f32_f64_e32 v2, v[0:1]
	s_mov_b32 s1, exec_lo
                                        ; implicit-def: $vgpr3
	s_delay_alu instid0(VALU_DEP_1) | instskip(NEXT) | instid1(VALU_DEP_1)
	v_and_b32_e32 v7, 0x7fffffff, v2
	v_cmpx_gt_u32_e32 0x43f00000, v7
	s_xor_b32 s1, exec_lo, s1
	s_cbranch_execz .LBB9_60
; %bb.55:
	s_mov_b32 s2, exec_lo
                                        ; implicit-def: $vgpr3
	v_cmpx_lt_u32_e32 0x3c7fffff, v7
	s_xor_b32 s2, exec_lo, s2
; %bb.56:
	v_bfe_u32 v3, v2, 20, 1
	s_delay_alu instid0(VALU_DEP_1) | instskip(NEXT) | instid1(VALU_DEP_1)
	v_add3_u32 v3, v2, v3, 0x407ffff
	v_and_b32_e32 v7, 0xff00000, v3
	v_lshrrev_b32_e32 v3, 20, v3
	s_delay_alu instid0(VALU_DEP_2) | instskip(NEXT) | instid1(VALU_DEP_2)
	v_cmp_ne_u32_e32 vcc_lo, 0x7f00000, v7
	v_cndmask_b32_e32 v3, 0x7e, v3, vcc_lo
; %bb.57:
	s_and_not1_saveexec_b32 s2, s2
; %bb.58:
	v_add_f32_e64 v3, 0x46800000, |v2|
; %bb.59:
	s_or_b32 exec_lo, exec_lo, s2
                                        ; implicit-def: $vgpr7
.LBB9_60:
	s_and_not1_saveexec_b32 s1, s1
; %bb.61:
	v_mov_b32_e32 v3, 0x7f
	v_cmp_lt_u32_e32 vcc_lo, 0x7f800000, v7
	s_delay_alu instid0(VALU_DEP_2)
	v_cndmask_b32_e32 v3, 0x7e, v3, vcc_lo
; %bb.62:
	s_or_b32 exec_lo, exec_lo, s1
	v_lshrrev_b32_e32 v2, 24, v2
	s_delay_alu instid0(VALU_DEP_1)
	v_and_or_b32 v2, 0x80, v2, v3
	global_store_b8 v[4:5], v2, off
.LBB9_63:
	s_mov_b32 s1, 0
.LBB9_64:
	s_delay_alu instid0(SALU_CYCLE_1)
	s_and_not1_b32 vcc_lo, exec_lo, s1
	s_cbranch_vccnz .LBB9_74
; %bb.65:
	v_cvt_f32_f64_e32 v2, v[0:1]
	s_mov_b32 s1, exec_lo
                                        ; implicit-def: $vgpr3
	s_delay_alu instid0(VALU_DEP_1) | instskip(NEXT) | instid1(VALU_DEP_1)
	v_and_b32_e32 v7, 0x7fffffff, v2
	v_cmpx_gt_u32_e32 0x47800000, v7
	s_xor_b32 s1, exec_lo, s1
	s_cbranch_execz .LBB9_71
; %bb.66:
	s_mov_b32 s2, exec_lo
                                        ; implicit-def: $vgpr3
	v_cmpx_lt_u32_e32 0x387fffff, v7
	s_xor_b32 s2, exec_lo, s2
; %bb.67:
	v_bfe_u32 v3, v2, 21, 1
	s_delay_alu instid0(VALU_DEP_1) | instskip(NEXT) | instid1(VALU_DEP_1)
	v_add3_u32 v3, v2, v3, 0x80fffff
	v_lshrrev_b32_e32 v3, 21, v3
; %bb.68:
	s_and_not1_saveexec_b32 s2, s2
; %bb.69:
	v_add_f32_e64 v3, 0x43000000, |v2|
; %bb.70:
	s_or_b32 exec_lo, exec_lo, s2
                                        ; implicit-def: $vgpr7
.LBB9_71:
	s_and_not1_saveexec_b32 s1, s1
; %bb.72:
	v_mov_b32_e32 v3, 0x7f
	v_cmp_lt_u32_e32 vcc_lo, 0x7f800000, v7
	s_delay_alu instid0(VALU_DEP_2)
	v_cndmask_b32_e32 v3, 0x7c, v3, vcc_lo
; %bb.73:
	s_or_b32 exec_lo, exec_lo, s1
	v_lshrrev_b32_e32 v2, 24, v2
	s_delay_alu instid0(VALU_DEP_1)
	v_and_or_b32 v2, 0x80, v2, v3
	global_store_b8 v[4:5], v2, off
.LBB9_74:
	s_mov_b32 s2, 0
	s_mov_b32 s1, -1
.LBB9_75:
	s_and_not1_b32 vcc_lo, exec_lo, s2
	s_cbranch_vccnz .LBB9_83
; %bb.76:
	v_cmp_lt_i16_e32 vcc_lo, 14, v6
	s_mov_b32 s2, -1
	s_cbranch_vccz .LBB9_80
; %bb.77:
	v_cmp_eq_u16_e32 vcc_lo, 15, v6
	s_mov_b32 s0, -1
	s_cbranch_vccz .LBB9_79
; %bb.78:
	v_cvt_f32_f64_e32 v2, v[0:1]
	s_mov_b32 s1, -1
	s_mov_b32 s0, 0
	s_delay_alu instid0(VALU_DEP_1) | instskip(SKIP_1) | instid1(VALU_DEP_2)
	v_bfe_u32 v3, v2, 16, 1
	v_cmp_o_f32_e32 vcc_lo, v2, v2
	v_add3_u32 v3, v2, v3, 0x7fff
	s_delay_alu instid0(VALU_DEP_1) | instskip(NEXT) | instid1(VALU_DEP_1)
	v_lshrrev_b32_e32 v3, 16, v3
	v_cndmask_b32_e32 v2, 0x7fc0, v3, vcc_lo
	global_store_b16 v[4:5], v2, off
.LBB9_79:
	s_mov_b32 s2, 0
.LBB9_80:
	s_delay_alu instid0(SALU_CYCLE_1)
	s_and_b32 vcc_lo, exec_lo, s2
	s_cbranch_vccz .LBB9_83
; %bb.81:
	v_cmp_eq_u16_e32 vcc_lo, 11, v6
	s_mov_b32 s0, -1
	s_cbranch_vccz .LBB9_83
; %bb.82:
	v_cmp_neq_f64_e32 vcc_lo, 0, v[0:1]
	s_mov_b32 s1, -1
	s_mov_b32 s0, 0
	v_cndmask_b32_e64 v2, 0, 1, vcc_lo
	global_store_b8 v[4:5], v2, off
.LBB9_83:
	s_branch .LBB9_10
.LBB9_84:
	v_cmp_gt_i16_e32 vcc_lo, 5, v6
	s_mov_b32 s1, -1
	s_cbranch_vccnz .LBB9_105
; %bb.85:
	v_cmp_gt_i16_e32 vcc_lo, 8, v6
	s_cbranch_vccnz .LBB9_95
; %bb.86:
	v_cmp_gt_i16_e32 vcc_lo, 9, v6
	s_cbranch_vccnz .LBB9_92
; %bb.87:
	v_cmp_lt_i16_e32 vcc_lo, 9, v6
	s_cbranch_vccz .LBB9_89
; %bb.88:
	v_mov_b32_e32 v2, 0
	s_mov_b32 s1, 0
	s_delay_alu instid0(VALU_DEP_1)
	v_mov_b32_e32 v3, v2
	global_store_b128 v[4:5], v[0:3], off
.LBB9_89:
	s_and_not1_b32 vcc_lo, exec_lo, s1
	s_cbranch_vccnz .LBB9_91
; %bb.90:
	v_cvt_f32_f64_e32 v2, v[0:1]
	v_mov_b32_e32 v3, 0
	global_store_b64 v[4:5], v[2:3], off
.LBB9_91:
	s_mov_b32 s1, 0
.LBB9_92:
	s_delay_alu instid0(SALU_CYCLE_1)
	s_and_not1_b32 vcc_lo, exec_lo, s1
	s_cbranch_vccnz .LBB9_94
; %bb.93:
	v_cvt_f32_f64_e32 v2, v[0:1]
	s_delay_alu instid0(VALU_DEP_1) | instskip(NEXT) | instid1(VALU_DEP_1)
	v_cvt_f16_f32_e32 v2, v2
	v_and_b32_e32 v2, 0xffff, v2
	global_store_b32 v[4:5], v2, off
.LBB9_94:
	s_mov_b32 s1, 0
.LBB9_95:
	s_delay_alu instid0(SALU_CYCLE_1)
	s_and_not1_b32 vcc_lo, exec_lo, s1
	s_cbranch_vccnz .LBB9_104
; %bb.96:
	v_cmp_gt_i16_e32 vcc_lo, 6, v6
	s_mov_b32 s1, -1
	s_cbranch_vccnz .LBB9_102
; %bb.97:
	v_cmp_lt_i16_e32 vcc_lo, 6, v6
	s_cbranch_vccz .LBB9_99
; %bb.98:
	s_mov_b32 s1, 0
	global_store_b64 v[4:5], v[0:1], off
.LBB9_99:
	s_and_not1_b32 vcc_lo, exec_lo, s1
	s_cbranch_vccnz .LBB9_101
; %bb.100:
	v_cvt_f32_f64_e32 v2, v[0:1]
	global_store_b32 v[4:5], v2, off
.LBB9_101:
	s_mov_b32 s1, 0
.LBB9_102:
	s_delay_alu instid0(SALU_CYCLE_1)
	s_and_not1_b32 vcc_lo, exec_lo, s1
	s_cbranch_vccnz .LBB9_104
; %bb.103:
	v_cvt_f32_f64_e32 v2, v[0:1]
	s_delay_alu instid0(VALU_DEP_1)
	v_cvt_f16_f32_e32 v2, v2
	global_store_b16 v[4:5], v2, off
.LBB9_104:
	s_mov_b32 s1, 0
.LBB9_105:
	s_delay_alu instid0(SALU_CYCLE_1)
	s_and_not1_b32 vcc_lo, exec_lo, s1
	s_cbranch_vccnz .LBB9_121
; %bb.106:
	v_cmp_gt_i16_e32 vcc_lo, 2, v6
	s_mov_b32 s1, -1
	s_cbranch_vccnz .LBB9_116
; %bb.107:
	v_cmp_gt_i16_e32 vcc_lo, 3, v6
	s_cbranch_vccnz .LBB9_113
; %bb.108:
	v_cmp_lt_i16_e32 vcc_lo, 3, v6
	s_cbranch_vccz .LBB9_110
; %bb.109:
	v_trunc_f64_e32 v[2:3], v[0:1]
	s_mov_b32 s1, 0
	s_delay_alu instid0(VALU_DEP_1) | instskip(NEXT) | instid1(VALU_DEP_1)
	v_ldexp_f64 v[7:8], v[2:3], 0xffffffe0
	v_floor_f64_e32 v[7:8], v[7:8]
	s_delay_alu instid0(VALU_DEP_1) | instskip(SKIP_1) | instid1(VALU_DEP_2)
	v_fma_f64 v[2:3], 0xc1f00000, v[7:8], v[2:3]
	v_cvt_i32_f64_e32 v8, v[7:8]
	v_cvt_u32_f64_e32 v7, v[2:3]
	global_store_b64 v[4:5], v[7:8], off
.LBB9_110:
	s_and_not1_b32 vcc_lo, exec_lo, s1
	s_cbranch_vccnz .LBB9_112
; %bb.111:
	v_cvt_i32_f64_e32 v2, v[0:1]
	global_store_b32 v[4:5], v2, off
.LBB9_112:
	s_mov_b32 s1, 0
.LBB9_113:
	s_delay_alu instid0(SALU_CYCLE_1)
	s_and_not1_b32 vcc_lo, exec_lo, s1
	s_cbranch_vccnz .LBB9_115
; %bb.114:
	v_cvt_i32_f64_e32 v2, v[0:1]
	global_store_b16 v[4:5], v2, off
.LBB9_115:
	s_mov_b32 s1, 0
.LBB9_116:
	s_delay_alu instid0(SALU_CYCLE_1)
	s_and_not1_b32 vcc_lo, exec_lo, s1
	s_cbranch_vccnz .LBB9_121
; %bb.117:
	v_cmp_lt_i16_e32 vcc_lo, 0, v6
	s_mov_b32 s1, -1
	s_cbranch_vccz .LBB9_119
; %bb.118:
	v_cvt_i32_f64_e32 v2, v[0:1]
	s_mov_b32 s1, 0
	global_store_b8 v[4:5], v2, off
.LBB9_119:
	s_and_not1_b32 vcc_lo, exec_lo, s1
	s_cbranch_vccnz .LBB9_121
; %bb.120:
	v_trunc_f64_e32 v[0:1], v[0:1]
	s_delay_alu instid0(VALU_DEP_1) | instskip(NEXT) | instid1(VALU_DEP_1)
	v_ldexp_f64 v[2:3], v[0:1], 0xffffffe0
	v_floor_f64_e32 v[2:3], v[2:3]
	s_delay_alu instid0(VALU_DEP_1) | instskip(NEXT) | instid1(VALU_DEP_1)
	v_fma_f64 v[0:1], 0xc1f00000, v[2:3], v[0:1]
	v_cvt_u32_f64_e32 v0, v[0:1]
	global_store_b8 v[4:5], v0, off
.LBB9_121:
	s_branch .LBB9_11
.LBB9_122:
	s_mov_b32 s1, 0
                                        ; implicit-def: $vgpr34
.LBB9_123:
	s_and_b32 s20, s0, exec_lo
	s_or_not1_b32 s0, s1, exec_lo
.LBB9_124:
	s_or_b32 exec_lo, exec_lo, s22
	s_mov_b32 s1, 0
                                        ; implicit-def: $vgpr6
                                        ; implicit-def: $vgpr4_vgpr5
                                        ; implicit-def: $vgpr0_vgpr1
	s_and_saveexec_b32 s22, s0
	s_cbranch_execz .LBB9_133
; %bb.125:
	s_mov_b32 s2, -1
	s_mov_b32 s23, s20
	s_mov_b32 s24, exec_lo
	v_cmpx_gt_i32_e64 s21, v34
	s_cbranch_execz .LBB9_784
; %bb.126:
	v_dual_mov_b32 v0, s18 :: v_dual_mov_b32 v1, s19
	v_dual_mov_b32 v2, s13 :: v_dual_mov_b32 v3, v35
	v_mov_b32_e32 v4, v34
	s_getpc_b64 s[0:1]
	s_add_u32 s0, s0, _ZN2at6native6invokeIZZZNS0_12_GLOBAL__N_130modified_bessel_k0_kernel_cudaERNS_18TensorIteratorBaseEENKUlvE_clEvENKUlvE_clEvEUldE_i15function_traitsIS7_EEENT1_11result_typeERKT_PrKPcPKT0_PKN3c1010ScalarTypeEi@rel32@lo+4
	s_addc_u32 s1, s1, _ZN2at6native6invokeIZZZNS0_12_GLOBAL__N_130modified_bessel_k0_kernel_cudaERNS_18TensorIteratorBaseEENKUlvE_clEvENKUlvE_clEvEUldE_i15function_traitsIS7_EEENT1_11result_typeERKT_PrKPcPKT0_PKN3c1010ScalarTypeEi@rel32@hi+12
	s_delay_alu instid0(SALU_CYCLE_1) | instskip(SKIP_2) | instid1(VALU_DEP_1)
	s_swappc_b64 s[30:31], s[0:1]
	v_mul_lo_u32 v2, v34, s12
	v_and_b32_e32 v6, 0xff, v37
	v_cmp_gt_i16_e32 vcc_lo, 11, v6
	s_delay_alu instid0(VALU_DEP_3) | instskip(SKIP_1) | instid1(VALU_DEP_1)
	v_ashrrev_i32_e32 v3, 31, v2
	v_add_co_u32 v4, s0, s16, v2
	v_add_co_ci_u32_e64 v5, s0, s17, v3, s0
	s_cbranch_vccnz .LBB9_567
; %bb.127:
	v_cmp_lt_i16_e32 vcc_lo, 25, v6
	s_cbranch_vccz .LBB9_654
; %bb.128:
	v_cmp_lt_i16_e32 vcc_lo, 28, v6
	s_cbranch_vccz .LBB9_656
	;; [unrolled: 3-line block ×4, first 2 shown]
; %bb.131:
	v_cmp_eq_u16_e32 vcc_lo, 46, v6
	s_mov_b32 s2, 0
	s_mov_b32 s0, -1
	s_mov_b32 s1, 0
	s_cbranch_vccz .LBB9_675
; %bb.132:
	v_cvt_f32_f64_e32 v2, v[0:1]
	s_mov_b32 s1, -1
	s_mov_b32 s0, 0
	s_delay_alu instid0(VALU_DEP_1) | instskip(SKIP_1) | instid1(VALU_DEP_2)
	v_bfe_u32 v3, v2, 16, 1
	v_cmp_o_f32_e32 vcc_lo, v2, v2
	v_add3_u32 v3, v2, v3, 0x7fff
	s_delay_alu instid0(VALU_DEP_1) | instskip(NEXT) | instid1(VALU_DEP_1)
	v_lshrrev_b32_e32 v3, 16, v3
	v_cndmask_b32_e32 v2, 0x7fc0, v3, vcc_lo
	global_store_b32 v[4:5], v2, off
	s_branch .LBB9_675
.LBB9_133:
	s_or_b32 exec_lo, exec_lo, s22
	s_mov_b32 s0, 0
	s_and_saveexec_b32 s2, s20
	s_cbranch_execnz .LBB9_1020
.LBB9_134:
	s_or_b32 exec_lo, exec_lo, s2
	s_and_saveexec_b32 s2, s23
	s_delay_alu instid0(SALU_CYCLE_1)
	s_xor_b32 s2, exec_lo, s2
	s_cbranch_execz .LBB9_136
.LBB9_135:
	v_cmp_neq_f64_e32 vcc_lo, 0, v[0:1]
	v_cndmask_b32_e64 v2, 0, 1, vcc_lo
	global_store_b8 v[4:5], v2, off
.LBB9_136:
	s_or_b32 exec_lo, exec_lo, s2
	s_and_saveexec_b32 s2, s1
	s_delay_alu instid0(SALU_CYCLE_1)
	s_xor_b32 s1, exec_lo, s2
	s_cbranch_execz .LBB9_174
; %bb.137:
	v_cmp_gt_i16_e32 vcc_lo, 5, v6
	s_mov_b32 s2, -1
	s_cbranch_vccnz .LBB9_158
; %bb.138:
	v_cmp_gt_i16_e32 vcc_lo, 8, v6
	s_cbranch_vccnz .LBB9_148
; %bb.139:
	v_cmp_gt_i16_e32 vcc_lo, 9, v6
	s_cbranch_vccnz .LBB9_145
; %bb.140:
	v_cmp_lt_i16_e32 vcc_lo, 9, v6
	s_cbranch_vccz .LBB9_142
; %bb.141:
	v_mov_b32_e32 v2, 0
	s_mov_b32 s2, 0
	s_delay_alu instid0(VALU_DEP_1)
	v_mov_b32_e32 v3, v2
	global_store_b128 v[4:5], v[0:3], off
.LBB9_142:
	s_and_not1_b32 vcc_lo, exec_lo, s2
	s_cbranch_vccnz .LBB9_144
; %bb.143:
	v_cvt_f32_f64_e32 v2, v[0:1]
	v_mov_b32_e32 v3, 0
	global_store_b64 v[4:5], v[2:3], off
.LBB9_144:
	s_mov_b32 s2, 0
.LBB9_145:
	s_delay_alu instid0(SALU_CYCLE_1)
	s_and_not1_b32 vcc_lo, exec_lo, s2
	s_cbranch_vccnz .LBB9_147
; %bb.146:
	v_cvt_f32_f64_e32 v2, v[0:1]
	s_delay_alu instid0(VALU_DEP_1) | instskip(NEXT) | instid1(VALU_DEP_1)
	v_cvt_f16_f32_e32 v2, v2
	v_and_b32_e32 v2, 0xffff, v2
	global_store_b32 v[4:5], v2, off
.LBB9_147:
	s_mov_b32 s2, 0
.LBB9_148:
	s_delay_alu instid0(SALU_CYCLE_1)
	s_and_not1_b32 vcc_lo, exec_lo, s2
	s_cbranch_vccnz .LBB9_157
; %bb.149:
	v_cmp_gt_i16_e32 vcc_lo, 6, v6
	s_mov_b32 s2, -1
	s_cbranch_vccnz .LBB9_155
; %bb.150:
	v_cmp_lt_i16_e32 vcc_lo, 6, v6
	s_cbranch_vccz .LBB9_152
; %bb.151:
	s_mov_b32 s2, 0
	global_store_b64 v[4:5], v[0:1], off
.LBB9_152:
	s_and_not1_b32 vcc_lo, exec_lo, s2
	s_cbranch_vccnz .LBB9_154
; %bb.153:
	v_cvt_f32_f64_e32 v2, v[0:1]
	global_store_b32 v[4:5], v2, off
.LBB9_154:
	s_mov_b32 s2, 0
.LBB9_155:
	s_delay_alu instid0(SALU_CYCLE_1)
	s_and_not1_b32 vcc_lo, exec_lo, s2
	s_cbranch_vccnz .LBB9_157
; %bb.156:
	v_cvt_f32_f64_e32 v2, v[0:1]
	s_delay_alu instid0(VALU_DEP_1)
	v_cvt_f16_f32_e32 v2, v2
	global_store_b16 v[4:5], v2, off
.LBB9_157:
	s_mov_b32 s2, 0
.LBB9_158:
	s_delay_alu instid0(SALU_CYCLE_1)
	s_and_not1_b32 vcc_lo, exec_lo, s2
	s_cbranch_vccnz .LBB9_174
; %bb.159:
	v_cmp_gt_i16_e32 vcc_lo, 2, v6
	s_mov_b32 s2, -1
	s_cbranch_vccnz .LBB9_169
; %bb.160:
	v_cmp_gt_i16_e32 vcc_lo, 3, v6
	s_cbranch_vccnz .LBB9_166
; %bb.161:
	v_cmp_lt_i16_e32 vcc_lo, 3, v6
	s_cbranch_vccz .LBB9_163
; %bb.162:
	v_trunc_f64_e32 v[2:3], v[0:1]
	s_mov_b32 s2, 0
	s_delay_alu instid0(VALU_DEP_1) | instskip(NEXT) | instid1(VALU_DEP_1)
	v_ldexp_f64 v[7:8], v[2:3], 0xffffffe0
	v_floor_f64_e32 v[7:8], v[7:8]
	s_delay_alu instid0(VALU_DEP_1) | instskip(SKIP_1) | instid1(VALU_DEP_2)
	v_fma_f64 v[2:3], 0xc1f00000, v[7:8], v[2:3]
	v_cvt_i32_f64_e32 v8, v[7:8]
	v_cvt_u32_f64_e32 v7, v[2:3]
	global_store_b64 v[4:5], v[7:8], off
.LBB9_163:
	s_and_not1_b32 vcc_lo, exec_lo, s2
	s_cbranch_vccnz .LBB9_165
; %bb.164:
	v_cvt_i32_f64_e32 v2, v[0:1]
	global_store_b32 v[4:5], v2, off
.LBB9_165:
	s_mov_b32 s2, 0
.LBB9_166:
	s_delay_alu instid0(SALU_CYCLE_1)
	s_and_not1_b32 vcc_lo, exec_lo, s2
	s_cbranch_vccnz .LBB9_168
; %bb.167:
	v_cvt_i32_f64_e32 v2, v[0:1]
	global_store_b16 v[4:5], v2, off
.LBB9_168:
	s_mov_b32 s2, 0
.LBB9_169:
	s_delay_alu instid0(SALU_CYCLE_1)
	s_and_not1_b32 vcc_lo, exec_lo, s2
	s_cbranch_vccnz .LBB9_174
; %bb.170:
	v_cmp_lt_i16_e32 vcc_lo, 0, v6
	s_mov_b32 s2, -1
	s_cbranch_vccz .LBB9_172
; %bb.171:
	v_cvt_i32_f64_e32 v2, v[0:1]
	s_mov_b32 s2, 0
	global_store_b8 v[4:5], v2, off
.LBB9_172:
	s_and_not1_b32 vcc_lo, exec_lo, s2
	s_cbranch_vccnz .LBB9_174
; %bb.173:
	v_trunc_f64_e32 v[0:1], v[0:1]
	s_delay_alu instid0(VALU_DEP_1) | instskip(NEXT) | instid1(VALU_DEP_1)
	v_ldexp_f64 v[2:3], v[0:1], 0xffffffe0
	v_floor_f64_e32 v[2:3], v[2:3]
	s_delay_alu instid0(VALU_DEP_1) | instskip(NEXT) | instid1(VALU_DEP_1)
	v_fma_f64 v[0:1], 0xc1f00000, v[2:3], v[0:1]
	v_cvt_u32_f64_e32 v0, v[0:1]
	global_store_b8 v[4:5], v0, off
.LBB9_174:
	s_or_b32 exec_lo, exec_lo, s1
	s_delay_alu instid0(SALU_CYCLE_1)
	s_and_b32 s20, s0, exec_lo
                                        ; implicit-def: $vgpr34
                                        ; implicit-def: $vgpr37
                                        ; implicit-def: $vgpr35
                                        ; implicit-def: $vgpr36
.LBB9_175:
	s_or_saveexec_b32 s15, s15
	s_mov_b32 s0, 0
                                        ; implicit-def: $vgpr6
                                        ; implicit-def: $vgpr4_vgpr5
                                        ; implicit-def: $vgpr0_vgpr1
	s_xor_b32 exec_lo, exec_lo, s15
	s_cbranch_execz .LBB9_611
; %bb.176:
	v_dual_mov_b32 v1, s19 :: v_dual_add_nc_u32 v28, 0x80, v34
	v_dual_mov_b32 v0, s18 :: v_dual_add_nc_u32 v29, 0x100, v34
	v_dual_mov_b32 v2, s13 :: v_dual_mov_b32 v3, v35
	v_mov_b32_e32 v4, v34
	s_getpc_b64 s[22:23]
	s_add_u32 s22, s22, _ZN2at6native6invokeIZZZNS0_12_GLOBAL__N_130modified_bessel_k0_kernel_cudaERNS_18TensorIteratorBaseEENKUlvE_clEvENKUlvE_clEvEUldE_i15function_traitsIS7_EEENT1_11result_typeERKT_PrKPcPKT0_PKN3c1010ScalarTypeEi@rel32@lo+4
	s_addc_u32 s23, s23, _ZN2at6native6invokeIZZZNS0_12_GLOBAL__N_130modified_bessel_k0_kernel_cudaERNS_18TensorIteratorBaseEENKUlvE_clEvENKUlvE_clEvEUldE_i15function_traitsIS7_EEENT1_11result_typeERKT_PrKPcPKT0_PKN3c1010ScalarTypeEi@rel32@hi+12
	s_delay_alu instid0(SALU_CYCLE_1)
	s_swappc_b64 s[30:31], s[22:23]
	v_dual_mov_b32 v32, v0 :: v_dual_mov_b32 v33, v1
	v_dual_mov_b32 v0, s18 :: v_dual_mov_b32 v1, s19
	;; [unrolled: 1-line block ×3, first 2 shown]
	v_mov_b32_e32 v4, v28
	s_swappc_b64 s[30:31], s[22:23]
	s_delay_alu instid0(VALU_DEP_3) | instskip(SKIP_4) | instid1(VALU_DEP_3)
	v_dual_mov_b32 v30, v0 :: v_dual_mov_b32 v31, v1
	v_dual_mov_b32 v0, s18 :: v_dual_mov_b32 v1, s19
	;; [unrolled: 1-line block ×3, first 2 shown]
	v_mov_b32_e32 v4, v29
	s_swappc_b64 s[30:31], s[22:23]
	v_dual_mov_b32 v28, v0 :: v_dual_mov_b32 v29, v1
	v_dual_mov_b32 v0, s18 :: v_dual_mov_b32 v1, s19
	;; [unrolled: 1-line block ×3, first 2 shown]
	v_mov_b32_e32 v4, v36
	s_swappc_b64 s[30:31], s[22:23]
	v_mul_lo_u32 v4, s12, v34
	v_and_b32_e32 v6, 0xff, v37
	s_delay_alu instid0(VALU_DEP_1) | instskip(NEXT) | instid1(VALU_DEP_3)
	v_cmp_gt_i16_e32 vcc_lo, 11, v6
	v_ashrrev_i32_e32 v3, 31, v4
	v_add_co_u32 v2, s0, s16, v4
	s_delay_alu instid0(VALU_DEP_1)
	v_add_co_ci_u32_e64 v3, s0, s17, v3, s0
	s_cbranch_vccnz .LBB9_255
; %bb.177:
	v_cmp_lt_i16_e32 vcc_lo, 25, v6
	s_mov_b32 s1, -1
	s_mov_b32 s2, 0
	s_mov_b32 s3, 0
	;; [unrolled: 1-line block ×3, first 2 shown]
	s_cbranch_vccz .LBB9_210
; %bb.178:
	v_cmp_lt_i16_e32 vcc_lo, 28, v6
	s_cbranch_vccz .LBB9_193
; %bb.179:
	v_cmp_lt_i16_e32 vcc_lo, 43, v6
	;; [unrolled: 3-line block ×3, first 2 shown]
	s_cbranch_vccz .LBB9_183
; %bb.181:
	v_cmp_eq_u16_e32 vcc_lo, 46, v6
	s_mov_b32 s0, -1
	s_mov_b32 s1, 0
	s_cbranch_vccz .LBB9_183
; %bb.182:
	v_cvt_f32_f64_e32 v5, v[32:33]
	s_mov_b32 s0, 0
	s_mov_b32 s3, -1
	s_delay_alu instid0(VALU_DEP_1) | instskip(SKIP_1) | instid1(VALU_DEP_2)
	v_bfe_u32 v7, v5, 16, 1
	v_cmp_o_f32_e32 vcc_lo, v5, v5
	v_add3_u32 v7, v5, v7, 0x7fff
	s_delay_alu instid0(VALU_DEP_1) | instskip(NEXT) | instid1(VALU_DEP_1)
	v_lshrrev_b32_e32 v7, 16, v7
	v_cndmask_b32_e32 v5, 0x7fc0, v7, vcc_lo
	global_store_b32 v[2:3], v5, off
.LBB9_183:
	s_and_b32 vcc_lo, exec_lo, s1
	s_cbranch_vccz .LBB9_188
; %bb.184:
	v_cmp_eq_u16_e32 vcc_lo, 44, v6
	s_mov_b32 s0, -1
	s_cbranch_vccz .LBB9_188
; %bb.185:
	v_cvt_f32_f64_e32 v5, v[32:33]
	v_mov_b32_e32 v7, 0xff
	s_mov_b32 s1, exec_lo
	s_delay_alu instid0(VALU_DEP_2) | instskip(NEXT) | instid1(VALU_DEP_1)
	v_bfe_u32 v8, v5, 23, 8
	v_cmpx_ne_u32_e32 0xff, v8
; %bb.186:
	v_and_b32_e32 v7, 0x400000, v5
	v_and_or_b32 v8, 0x3fffff, v5, v8
	v_lshrrev_b32_e32 v5, 23, v5
	s_delay_alu instid0(VALU_DEP_3) | instskip(NEXT) | instid1(VALU_DEP_3)
	v_cmp_ne_u32_e32 vcc_lo, 0, v7
	v_cmp_ne_u32_e64 s0, 0, v8
	s_delay_alu instid0(VALU_DEP_1) | instskip(NEXT) | instid1(SALU_CYCLE_1)
	s_and_b32 s0, vcc_lo, s0
	v_cndmask_b32_e64 v7, 0, 1, s0
	s_delay_alu instid0(VALU_DEP_1)
	v_add_nc_u32_e32 v7, v5, v7
; %bb.187:
	s_or_b32 exec_lo, exec_lo, s1
	s_mov_b32 s0, 0
	s_mov_b32 s3, -1
	global_store_b8 v[2:3], v7, off
.LBB9_188:
	s_mov_b32 s1, 0
.LBB9_189:
	s_delay_alu instid0(SALU_CYCLE_1)
	s_and_b32 vcc_lo, exec_lo, s1
	s_cbranch_vccz .LBB9_192
; %bb.190:
	v_cmp_eq_u16_e32 vcc_lo, 29, v6
	s_mov_b32 s0, -1
	s_cbranch_vccz .LBB9_192
; %bb.191:
	v_trunc_f64_e32 v[7:8], v[32:33]
	s_mov_b32 s0, 0
	s_mov_b32 s3, -1
	s_delay_alu instid0(VALU_DEP_1) | instskip(NEXT) | instid1(VALU_DEP_1)
	v_ldexp_f64 v[9:10], v[7:8], 0xffffffe0
	v_floor_f64_e32 v[9:10], v[9:10]
	s_delay_alu instid0(VALU_DEP_1) | instskip(SKIP_1) | instid1(VALU_DEP_2)
	v_fma_f64 v[7:8], 0xc1f00000, v[9:10], v[7:8]
	v_cvt_u32_f64_e32 v9, v[9:10]
	v_cvt_u32_f64_e32 v8, v[7:8]
	global_store_b64 v[2:3], v[8:9], off
.LBB9_192:
	s_mov_b32 s1, 0
.LBB9_193:
	s_delay_alu instid0(SALU_CYCLE_1)
	s_and_b32 vcc_lo, exec_lo, s1
	s_cbranch_vccz .LBB9_209
; %bb.194:
	v_cmp_gt_i16_e32 vcc_lo, 27, v6
	s_mov_b32 s1, -1
	s_cbranch_vccnz .LBB9_200
; %bb.195:
	v_cmp_lt_i16_e32 vcc_lo, 27, v6
	s_cbranch_vccz .LBB9_197
; %bb.196:
	v_cvt_u32_f64_e32 v5, v[32:33]
	s_mov_b32 s1, 0
	global_store_b32 v[2:3], v5, off
.LBB9_197:
	s_and_not1_b32 vcc_lo, exec_lo, s1
	s_cbranch_vccnz .LBB9_199
; %bb.198:
	v_cvt_u32_f64_e32 v5, v[32:33]
	global_store_b16 v[2:3], v5, off
.LBB9_199:
	s_mov_b32 s1, 0
.LBB9_200:
	s_delay_alu instid0(SALU_CYCLE_1)
	s_and_not1_b32 vcc_lo, exec_lo, s1
	s_cbranch_vccnz .LBB9_208
; %bb.201:
	v_cvt_f32_f64_e32 v5, v[32:33]
	v_mov_b32_e32 v8, 0x80
	s_mov_b32 s1, exec_lo
	s_delay_alu instid0(VALU_DEP_2) | instskip(NEXT) | instid1(VALU_DEP_1)
	v_and_b32_e32 v7, 0x7fffffff, v5
	v_cmpx_gt_u32_e32 0x43800000, v7
	s_cbranch_execz .LBB9_207
; %bb.202:
	v_cmp_lt_u32_e32 vcc_lo, 0x3bffffff, v7
	s_mov_b32 s3, 0
                                        ; implicit-def: $vgpr7
	s_and_saveexec_b32 s4, vcc_lo
	s_delay_alu instid0(SALU_CYCLE_1)
	s_xor_b32 s4, exec_lo, s4
	s_cbranch_execz .LBB9_657
; %bb.203:
	v_bfe_u32 v7, v5, 20, 1
	s_mov_b32 s3, exec_lo
	s_delay_alu instid0(VALU_DEP_1) | instskip(NEXT) | instid1(VALU_DEP_1)
	v_add3_u32 v7, v5, v7, 0x487ffff
	v_lshrrev_b32_e32 v7, 20, v7
	s_or_saveexec_b32 s4, s4
                                        ; implicit-def: $sgpr5
	s_delay_alu instid0(SALU_CYCLE_1)
	s_xor_b32 exec_lo, exec_lo, s4
	s_cbranch_execnz .LBB9_658
.LBB9_204:
	s_or_b32 exec_lo, exec_lo, s4
	v_mov_b32_e32 v8, s5
	s_and_saveexec_b32 s4, s3
.LBB9_205:
	v_lshrrev_b32_e32 v5, 24, v5
	s_delay_alu instid0(VALU_DEP_1)
	v_and_or_b32 v8, 0x80, v5, v7
.LBB9_206:
	s_or_b32 exec_lo, exec_lo, s4
.LBB9_207:
	s_delay_alu instid0(SALU_CYCLE_1)
	s_or_b32 exec_lo, exec_lo, s1
	global_store_b8 v[2:3], v8, off
.LBB9_208:
	s_mov_b32 s3, -1
.LBB9_209:
	s_mov_b32 s1, 0
.LBB9_210:
	s_delay_alu instid0(SALU_CYCLE_1)
	s_and_b32 vcc_lo, exec_lo, s1
	s_cbranch_vccz .LBB9_250
; %bb.211:
	v_cmp_lt_i16_e32 vcc_lo, 22, v6
	s_mov_b32 s1, -1
	s_cbranch_vccz .LBB9_243
; %bb.212:
	v_cmp_gt_i16_e32 vcc_lo, 24, v6
	s_cbranch_vccnz .LBB9_232
; %bb.213:
	v_cmp_lt_i16_e32 vcc_lo, 24, v6
	s_cbranch_vccz .LBB9_221
; %bb.214:
	v_cvt_f32_f64_e32 v5, v[32:33]
	v_mov_b32_e32 v8, 0x80
	s_mov_b32 s1, exec_lo
	s_delay_alu instid0(VALU_DEP_2) | instskip(NEXT) | instid1(VALU_DEP_1)
	v_and_b32_e32 v7, 0x7fffffff, v5
	v_cmpx_gt_u32_e32 0x47800000, v7
	s_cbranch_execz .LBB9_220
; %bb.215:
	v_cmp_lt_u32_e32 vcc_lo, 0x37ffffff, v7
                                        ; implicit-def: $vgpr7
	s_and_saveexec_b32 s3, vcc_lo
	s_delay_alu instid0(SALU_CYCLE_1)
	s_xor_b32 s3, exec_lo, s3
	s_cbranch_execz .LBB9_664
; %bb.216:
	v_bfe_u32 v7, v5, 21, 1
	s_mov_b32 s2, exec_lo
	s_delay_alu instid0(VALU_DEP_1) | instskip(NEXT) | instid1(VALU_DEP_1)
	v_add3_u32 v7, v5, v7, 0x88fffff
	v_lshrrev_b32_e32 v7, 21, v7
	s_or_saveexec_b32 s3, s3
                                        ; implicit-def: $sgpr4
	s_delay_alu instid0(SALU_CYCLE_1)
	s_xor_b32 exec_lo, exec_lo, s3
	s_cbranch_execnz .LBB9_665
.LBB9_217:
	s_or_b32 exec_lo, exec_lo, s3
	v_mov_b32_e32 v8, s4
	s_and_saveexec_b32 s3, s2
.LBB9_218:
	v_lshrrev_b32_e32 v5, 24, v5
	s_delay_alu instid0(VALU_DEP_1)
	v_and_or_b32 v8, 0x80, v5, v7
.LBB9_219:
	s_or_b32 exec_lo, exec_lo, s3
.LBB9_220:
	s_delay_alu instid0(SALU_CYCLE_1)
	s_or_b32 exec_lo, exec_lo, s1
	s_mov_b32 s1, 0
	global_store_b8 v[2:3], v8, off
.LBB9_221:
	s_and_b32 vcc_lo, exec_lo, s1
	s_cbranch_vccz .LBB9_231
; %bb.222:
	v_cvt_f32_f64_e32 v5, v[32:33]
	s_mov_b32 s1, exec_lo
                                        ; implicit-def: $vgpr7
	s_delay_alu instid0(VALU_DEP_1) | instskip(NEXT) | instid1(VALU_DEP_1)
	v_and_b32_e32 v8, 0x7fffffff, v5
	v_cmpx_gt_u32_e32 0x43f00000, v8
	s_xor_b32 s1, exec_lo, s1
	s_cbranch_execz .LBB9_228
; %bb.223:
	s_mov_b32 s2, exec_lo
                                        ; implicit-def: $vgpr7
	v_cmpx_lt_u32_e32 0x3c7fffff, v8
	s_xor_b32 s2, exec_lo, s2
; %bb.224:
	v_bfe_u32 v7, v5, 20, 1
	s_delay_alu instid0(VALU_DEP_1) | instskip(NEXT) | instid1(VALU_DEP_1)
	v_add3_u32 v7, v5, v7, 0x407ffff
	v_and_b32_e32 v8, 0xff00000, v7
	v_lshrrev_b32_e32 v7, 20, v7
	s_delay_alu instid0(VALU_DEP_2) | instskip(NEXT) | instid1(VALU_DEP_2)
	v_cmp_ne_u32_e32 vcc_lo, 0x7f00000, v8
	v_cndmask_b32_e32 v7, 0x7e, v7, vcc_lo
; %bb.225:
	s_and_not1_saveexec_b32 s2, s2
; %bb.226:
	v_add_f32_e64 v7, 0x46800000, |v5|
; %bb.227:
	s_or_b32 exec_lo, exec_lo, s2
                                        ; implicit-def: $vgpr8
.LBB9_228:
	s_and_not1_saveexec_b32 s1, s1
; %bb.229:
	v_mov_b32_e32 v7, 0x7f
	v_cmp_lt_u32_e32 vcc_lo, 0x7f800000, v8
	s_delay_alu instid0(VALU_DEP_2)
	v_cndmask_b32_e32 v7, 0x7e, v7, vcc_lo
; %bb.230:
	s_or_b32 exec_lo, exec_lo, s1
	v_lshrrev_b32_e32 v5, 24, v5
	s_delay_alu instid0(VALU_DEP_1)
	v_and_or_b32 v5, 0x80, v5, v7
	global_store_b8 v[2:3], v5, off
.LBB9_231:
	s_mov_b32 s1, 0
.LBB9_232:
	s_delay_alu instid0(SALU_CYCLE_1)
	s_and_not1_b32 vcc_lo, exec_lo, s1
	s_cbranch_vccnz .LBB9_242
; %bb.233:
	v_cvt_f32_f64_e32 v5, v[32:33]
	s_mov_b32 s1, exec_lo
                                        ; implicit-def: $vgpr7
	s_delay_alu instid0(VALU_DEP_1) | instskip(NEXT) | instid1(VALU_DEP_1)
	v_and_b32_e32 v8, 0x7fffffff, v5
	v_cmpx_gt_u32_e32 0x47800000, v8
	s_xor_b32 s1, exec_lo, s1
	s_cbranch_execz .LBB9_239
; %bb.234:
	s_mov_b32 s2, exec_lo
                                        ; implicit-def: $vgpr7
	v_cmpx_lt_u32_e32 0x387fffff, v8
	s_xor_b32 s2, exec_lo, s2
; %bb.235:
	v_bfe_u32 v7, v5, 21, 1
	s_delay_alu instid0(VALU_DEP_1) | instskip(NEXT) | instid1(VALU_DEP_1)
	v_add3_u32 v7, v5, v7, 0x80fffff
	v_lshrrev_b32_e32 v7, 21, v7
; %bb.236:
	s_and_not1_saveexec_b32 s2, s2
; %bb.237:
	v_add_f32_e64 v7, 0x43000000, |v5|
; %bb.238:
	s_or_b32 exec_lo, exec_lo, s2
                                        ; implicit-def: $vgpr8
.LBB9_239:
	s_and_not1_saveexec_b32 s1, s1
; %bb.240:
	v_mov_b32_e32 v7, 0x7f
	v_cmp_lt_u32_e32 vcc_lo, 0x7f800000, v8
	s_delay_alu instid0(VALU_DEP_2)
	v_cndmask_b32_e32 v7, 0x7c, v7, vcc_lo
; %bb.241:
	s_or_b32 exec_lo, exec_lo, s1
	v_lshrrev_b32_e32 v5, 24, v5
	s_delay_alu instid0(VALU_DEP_1)
	v_and_or_b32 v5, 0x80, v5, v7
	global_store_b8 v[2:3], v5, off
.LBB9_242:
	s_mov_b32 s1, 0
	s_mov_b32 s3, -1
.LBB9_243:
	s_and_not1_b32 vcc_lo, exec_lo, s1
	s_mov_b32 s2, 0
	s_cbranch_vccnz .LBB9_250
; %bb.244:
	v_cmp_lt_i16_e32 vcc_lo, 14, v6
	s_mov_b32 s1, -1
	s_cbranch_vccz .LBB9_248
; %bb.245:
	v_cmp_eq_u16_e32 vcc_lo, 15, v6
	s_mov_b32 s0, -1
	s_cbranch_vccz .LBB9_247
; %bb.246:
	v_cvt_f32_f64_e32 v5, v[32:33]
	s_mov_b32 s0, 0
	s_mov_b32 s3, -1
	s_delay_alu instid0(VALU_DEP_1) | instskip(SKIP_1) | instid1(VALU_DEP_2)
	v_bfe_u32 v7, v5, 16, 1
	v_cmp_o_f32_e32 vcc_lo, v5, v5
	v_add3_u32 v7, v5, v7, 0x7fff
	s_delay_alu instid0(VALU_DEP_1) | instskip(NEXT) | instid1(VALU_DEP_1)
	v_lshrrev_b32_e32 v7, 16, v7
	v_cndmask_b32_e32 v5, 0x7fc0, v7, vcc_lo
	global_store_b16 v[2:3], v5, off
.LBB9_247:
	s_mov_b32 s1, 0
.LBB9_248:
	s_delay_alu instid0(SALU_CYCLE_1)
	s_and_b32 vcc_lo, exec_lo, s1
	s_cbranch_vccz .LBB9_250
; %bb.249:
	v_cmp_ne_u16_e64 s0, 11, v6
	s_mov_b32 s2, -1
.LBB9_250:
	s_delay_alu instid0(VALU_DEP_1)
	s_and_b32 vcc_lo, exec_lo, s0
	s_mov_b32 s1, s20
	s_cbranch_vccnz .LBB9_659
; %bb.251:
	s_and_not1_b32 vcc_lo, exec_lo, s2
	s_cbranch_vccnz .LBB9_253
.LBB9_252:
	v_cmp_neq_f64_e32 vcc_lo, 0, v[32:33]
	s_mov_b32 s3, -1
	v_cndmask_b32_e64 v5, 0, 1, vcc_lo
	global_store_b8 v[2:3], v5, off
.LBB9_253:
.LBB9_254:
	s_and_not1_b32 vcc_lo, exec_lo, s3
	s_cbranch_vccz .LBB9_294
	s_branch .LBB9_609
.LBB9_255:
	s_mov_b32 s3, 0
	s_mov_b32 s1, s20
	s_cbranch_execz .LBB9_254
; %bb.256:
	v_cmp_gt_i16_e32 vcc_lo, 5, v6
	s_mov_b32 s0, -1
	s_cbranch_vccnz .LBB9_277
; %bb.257:
	v_cmp_gt_i16_e32 vcc_lo, 8, v6
	s_cbranch_vccnz .LBB9_267
; %bb.258:
	v_cmp_gt_i16_e32 vcc_lo, 9, v6
	s_cbranch_vccnz .LBB9_264
; %bb.259:
	v_cmp_lt_i16_e32 vcc_lo, 9, v6
	s_cbranch_vccz .LBB9_261
; %bb.260:
	v_mov_b32_e32 v34, 0
	s_mov_b32 s0, 0
	s_delay_alu instid0(VALU_DEP_1)
	v_mov_b32_e32 v35, v34
	global_store_b128 v[2:3], v[32:35], off
.LBB9_261:
	s_and_not1_b32 vcc_lo, exec_lo, s0
	s_cbranch_vccnz .LBB9_263
; %bb.262:
	v_cvt_f32_f64_e32 v7, v[32:33]
	v_mov_b32_e32 v8, 0
	global_store_b64 v[2:3], v[7:8], off
.LBB9_263:
	s_mov_b32 s0, 0
.LBB9_264:
	s_delay_alu instid0(SALU_CYCLE_1)
	s_and_not1_b32 vcc_lo, exec_lo, s0
	s_cbranch_vccnz .LBB9_266
; %bb.265:
	v_cvt_f32_f64_e32 v5, v[32:33]
	s_delay_alu instid0(VALU_DEP_1) | instskip(NEXT) | instid1(VALU_DEP_1)
	v_cvt_f16_f32_e32 v5, v5
	v_and_b32_e32 v5, 0xffff, v5
	global_store_b32 v[2:3], v5, off
.LBB9_266:
	s_mov_b32 s0, 0
.LBB9_267:
	s_delay_alu instid0(SALU_CYCLE_1)
	s_and_not1_b32 vcc_lo, exec_lo, s0
	s_cbranch_vccnz .LBB9_276
; %bb.268:
	v_cmp_gt_i16_e32 vcc_lo, 6, v6
	s_mov_b32 s0, -1
	s_cbranch_vccnz .LBB9_274
; %bb.269:
	v_cmp_lt_i16_e32 vcc_lo, 6, v6
	s_cbranch_vccz .LBB9_271
; %bb.270:
	s_mov_b32 s0, 0
	global_store_b64 v[2:3], v[32:33], off
.LBB9_271:
	s_and_not1_b32 vcc_lo, exec_lo, s0
	s_cbranch_vccnz .LBB9_273
; %bb.272:
	v_cvt_f32_f64_e32 v5, v[32:33]
	global_store_b32 v[2:3], v5, off
.LBB9_273:
	s_mov_b32 s0, 0
.LBB9_274:
	s_delay_alu instid0(SALU_CYCLE_1)
	s_and_not1_b32 vcc_lo, exec_lo, s0
	s_cbranch_vccnz .LBB9_276
; %bb.275:
	v_cvt_f32_f64_e32 v5, v[32:33]
	s_delay_alu instid0(VALU_DEP_1)
	v_cvt_f16_f32_e32 v5, v5
	global_store_b16 v[2:3], v5, off
.LBB9_276:
	s_mov_b32 s0, 0
.LBB9_277:
	s_delay_alu instid0(SALU_CYCLE_1)
	s_and_not1_b32 vcc_lo, exec_lo, s0
	s_cbranch_vccnz .LBB9_293
; %bb.278:
	v_cmp_gt_i16_e32 vcc_lo, 2, v6
	s_mov_b32 s0, -1
	s_cbranch_vccnz .LBB9_288
; %bb.279:
	v_cmp_gt_i16_e32 vcc_lo, 3, v6
	s_cbranch_vccnz .LBB9_285
; %bb.280:
	v_cmp_lt_i16_e32 vcc_lo, 3, v6
	s_cbranch_vccz .LBB9_282
; %bb.281:
	v_trunc_f64_e32 v[7:8], v[32:33]
	s_mov_b32 s0, 0
	s_delay_alu instid0(VALU_DEP_1) | instskip(NEXT) | instid1(VALU_DEP_1)
	v_ldexp_f64 v[9:10], v[7:8], 0xffffffe0
	v_floor_f64_e32 v[9:10], v[9:10]
	s_delay_alu instid0(VALU_DEP_1) | instskip(SKIP_1) | instid1(VALU_DEP_2)
	v_fma_f64 v[7:8], 0xc1f00000, v[9:10], v[7:8]
	v_cvt_i32_f64_e32 v9, v[9:10]
	v_cvt_u32_f64_e32 v8, v[7:8]
	global_store_b64 v[2:3], v[8:9], off
.LBB9_282:
	s_and_not1_b32 vcc_lo, exec_lo, s0
	s_cbranch_vccnz .LBB9_284
; %bb.283:
	v_cvt_i32_f64_e32 v5, v[32:33]
	global_store_b32 v[2:3], v5, off
.LBB9_284:
	s_mov_b32 s0, 0
.LBB9_285:
	s_delay_alu instid0(SALU_CYCLE_1)
	s_and_not1_b32 vcc_lo, exec_lo, s0
	s_cbranch_vccnz .LBB9_287
; %bb.286:
	v_cvt_i32_f64_e32 v5, v[32:33]
	global_store_b16 v[2:3], v5, off
.LBB9_287:
	s_mov_b32 s0, 0
.LBB9_288:
	s_delay_alu instid0(SALU_CYCLE_1)
	s_and_not1_b32 vcc_lo, exec_lo, s0
	s_cbranch_vccnz .LBB9_293
; %bb.289:
	v_cmp_lt_i16_e32 vcc_lo, 0, v6
	s_mov_b32 s0, -1
	s_cbranch_vccz .LBB9_291
; %bb.290:
	v_cvt_i32_f64_e32 v5, v[32:33]
	s_mov_b32 s0, 0
	global_store_b8 v[2:3], v5, off
.LBB9_291:
	s_and_not1_b32 vcc_lo, exec_lo, s0
	s_cbranch_vccnz .LBB9_293
; %bb.292:
	v_trunc_f64_e32 v[7:8], v[32:33]
	s_delay_alu instid0(VALU_DEP_1) | instskip(NEXT) | instid1(VALU_DEP_1)
	v_ldexp_f64 v[9:10], v[7:8], 0xffffffe0
	v_floor_f64_e32 v[9:10], v[9:10]
	s_delay_alu instid0(VALU_DEP_1) | instskip(NEXT) | instid1(VALU_DEP_1)
	v_fma_f64 v[7:8], 0xc1f00000, v[9:10], v[7:8]
	v_cvt_u32_f64_e32 v5, v[7:8]
	global_store_b8 v[2:3], v5, off
.LBB9_293:
.LBB9_294:
	s_lshl_b32 s2, s12, 7
	v_cmp_gt_i16_e32 vcc_lo, 11, v6
	v_add_nc_u32_e32 v4, s2, v4
	s_delay_alu instid0(VALU_DEP_1) | instskip(SKIP_1) | instid1(VALU_DEP_1)
	v_ashrrev_i32_e32 v3, 31, v4
	v_add_co_u32 v2, s0, s16, v4
	v_add_co_ci_u32_e64 v3, s0, s17, v3, s0
	s_cbranch_vccnz .LBB9_373
; %bb.295:
	v_cmp_lt_i16_e32 vcc_lo, 25, v6
	s_mov_b32 s5, -1
	s_mov_b32 s3, 0
	s_mov_b32 s4, 0
	;; [unrolled: 1-line block ×3, first 2 shown]
	s_cbranch_vccz .LBB9_328
; %bb.296:
	v_cmp_lt_i16_e32 vcc_lo, 28, v6
	s_cbranch_vccz .LBB9_311
; %bb.297:
	v_cmp_lt_i16_e32 vcc_lo, 43, v6
	;; [unrolled: 3-line block ×3, first 2 shown]
	s_cbranch_vccz .LBB9_301
; %bb.299:
	v_cmp_eq_u16_e32 vcc_lo, 46, v6
	s_mov_b32 s0, -1
	s_mov_b32 s5, 0
	s_cbranch_vccz .LBB9_301
; %bb.300:
	v_cvt_f32_f64_e32 v5, v[30:31]
	s_mov_b32 s0, 0
	s_mov_b32 s4, -1
	s_delay_alu instid0(VALU_DEP_1) | instskip(SKIP_1) | instid1(VALU_DEP_2)
	v_bfe_u32 v7, v5, 16, 1
	v_cmp_o_f32_e32 vcc_lo, v5, v5
	v_add3_u32 v7, v5, v7, 0x7fff
	s_delay_alu instid0(VALU_DEP_1) | instskip(NEXT) | instid1(VALU_DEP_1)
	v_lshrrev_b32_e32 v7, 16, v7
	v_cndmask_b32_e32 v5, 0x7fc0, v7, vcc_lo
	global_store_b32 v[2:3], v5, off
.LBB9_301:
	s_and_b32 vcc_lo, exec_lo, s5
	s_cbranch_vccz .LBB9_306
; %bb.302:
	v_cmp_eq_u16_e32 vcc_lo, 44, v6
	s_mov_b32 s0, -1
	s_cbranch_vccz .LBB9_306
; %bb.303:
	v_cvt_f32_f64_e32 v5, v[30:31]
	v_mov_b32_e32 v7, 0xff
	s_mov_b32 s4, exec_lo
	s_delay_alu instid0(VALU_DEP_2) | instskip(NEXT) | instid1(VALU_DEP_1)
	v_bfe_u32 v8, v5, 23, 8
	v_cmpx_ne_u32_e32 0xff, v8
; %bb.304:
	v_and_b32_e32 v7, 0x400000, v5
	v_and_or_b32 v8, 0x3fffff, v5, v8
	v_lshrrev_b32_e32 v5, 23, v5
	s_delay_alu instid0(VALU_DEP_3) | instskip(NEXT) | instid1(VALU_DEP_3)
	v_cmp_ne_u32_e32 vcc_lo, 0, v7
	v_cmp_ne_u32_e64 s0, 0, v8
	s_delay_alu instid0(VALU_DEP_1) | instskip(NEXT) | instid1(SALU_CYCLE_1)
	s_and_b32 s0, vcc_lo, s0
	v_cndmask_b32_e64 v7, 0, 1, s0
	s_delay_alu instid0(VALU_DEP_1)
	v_add_nc_u32_e32 v7, v5, v7
; %bb.305:
	s_or_b32 exec_lo, exec_lo, s4
	s_mov_b32 s0, 0
	s_mov_b32 s4, -1
	global_store_b8 v[2:3], v7, off
.LBB9_306:
	s_mov_b32 s5, 0
.LBB9_307:
	s_delay_alu instid0(SALU_CYCLE_1)
	s_and_b32 vcc_lo, exec_lo, s5
	s_cbranch_vccz .LBB9_310
; %bb.308:
	v_cmp_eq_u16_e32 vcc_lo, 29, v6
	s_mov_b32 s0, -1
	s_cbranch_vccz .LBB9_310
; %bb.309:
	v_trunc_f64_e32 v[7:8], v[30:31]
	s_mov_b32 s0, 0
	s_mov_b32 s4, -1
	s_delay_alu instid0(VALU_DEP_1) | instskip(NEXT) | instid1(VALU_DEP_1)
	v_ldexp_f64 v[9:10], v[7:8], 0xffffffe0
	v_floor_f64_e32 v[9:10], v[9:10]
	s_delay_alu instid0(VALU_DEP_1) | instskip(SKIP_1) | instid1(VALU_DEP_2)
	v_fma_f64 v[7:8], 0xc1f00000, v[9:10], v[7:8]
	v_cvt_u32_f64_e32 v9, v[9:10]
	v_cvt_u32_f64_e32 v8, v[7:8]
	global_store_b64 v[2:3], v[8:9], off
.LBB9_310:
	s_mov_b32 s5, 0
.LBB9_311:
	s_delay_alu instid0(SALU_CYCLE_1)
	s_and_b32 vcc_lo, exec_lo, s5
	s_cbranch_vccz .LBB9_327
; %bb.312:
	v_cmp_gt_i16_e32 vcc_lo, 27, v6
	s_mov_b32 s4, -1
	s_cbranch_vccnz .LBB9_318
; %bb.313:
	v_cvt_u32_f64_e32 v5, v[30:31]
	v_cmp_lt_i16_e32 vcc_lo, 27, v6
	s_cbranch_vccz .LBB9_315
; %bb.314:
	s_mov_b32 s4, 0
	global_store_b32 v[2:3], v5, off
.LBB9_315:
	s_and_not1_b32 vcc_lo, exec_lo, s4
	s_cbranch_vccnz .LBB9_317
; %bb.316:
	global_store_b16 v[2:3], v5, off
.LBB9_317:
	s_mov_b32 s4, 0
.LBB9_318:
	s_delay_alu instid0(SALU_CYCLE_1)
	s_and_not1_b32 vcc_lo, exec_lo, s4
	s_cbranch_vccnz .LBB9_326
; %bb.319:
	v_cvt_f32_f64_e32 v5, v[30:31]
	v_mov_b32_e32 v8, 0x80
	s_mov_b32 s4, exec_lo
	s_delay_alu instid0(VALU_DEP_2) | instskip(NEXT) | instid1(VALU_DEP_1)
	v_and_b32_e32 v7, 0x7fffffff, v5
	v_cmpx_gt_u32_e32 0x43800000, v7
	s_cbranch_execz .LBB9_325
; %bb.320:
	v_cmp_lt_u32_e32 vcc_lo, 0x3bffffff, v7
	s_mov_b32 s5, 0
                                        ; implicit-def: $vgpr7
	s_and_saveexec_b32 s6, vcc_lo
	s_delay_alu instid0(SALU_CYCLE_1)
	s_xor_b32 s6, exec_lo, s6
	s_cbranch_execz .LBB9_666
; %bb.321:
	v_bfe_u32 v7, v5, 20, 1
	s_mov_b32 s5, exec_lo
	s_delay_alu instid0(VALU_DEP_1) | instskip(NEXT) | instid1(VALU_DEP_1)
	v_add3_u32 v7, v5, v7, 0x487ffff
	v_lshrrev_b32_e32 v7, 20, v7
	s_or_saveexec_b32 s6, s6
                                        ; implicit-def: $sgpr7
	s_delay_alu instid0(SALU_CYCLE_1)
	s_xor_b32 exec_lo, exec_lo, s6
	s_cbranch_execnz .LBB9_667
.LBB9_322:
	s_or_b32 exec_lo, exec_lo, s6
	v_mov_b32_e32 v8, s7
	s_and_saveexec_b32 s6, s5
.LBB9_323:
	v_lshrrev_b32_e32 v5, 24, v5
	s_delay_alu instid0(VALU_DEP_1)
	v_and_or_b32 v8, 0x80, v5, v7
.LBB9_324:
	s_or_b32 exec_lo, exec_lo, s6
.LBB9_325:
	s_delay_alu instid0(SALU_CYCLE_1)
	s_or_b32 exec_lo, exec_lo, s4
	global_store_b8 v[2:3], v8, off
.LBB9_326:
	s_mov_b32 s4, -1
.LBB9_327:
	s_mov_b32 s5, 0
.LBB9_328:
	s_delay_alu instid0(SALU_CYCLE_1)
	s_and_b32 vcc_lo, exec_lo, s5
	s_cbranch_vccz .LBB9_368
; %bb.329:
	v_cmp_lt_i16_e32 vcc_lo, 22, v6
	s_mov_b32 s3, -1
	s_cbranch_vccz .LBB9_361
; %bb.330:
	v_cmp_gt_i16_e32 vcc_lo, 24, v6
	s_cbranch_vccnz .LBB9_350
; %bb.331:
	v_cmp_lt_i16_e32 vcc_lo, 24, v6
	s_cbranch_vccz .LBB9_339
; %bb.332:
	v_cvt_f32_f64_e32 v5, v[30:31]
	v_mov_b32_e32 v8, 0x80
	s_mov_b32 s3, exec_lo
	s_delay_alu instid0(VALU_DEP_2) | instskip(NEXT) | instid1(VALU_DEP_1)
	v_and_b32_e32 v7, 0x7fffffff, v5
	v_cmpx_gt_u32_e32 0x47800000, v7
	s_cbranch_execz .LBB9_338
; %bb.333:
	v_cmp_lt_u32_e32 vcc_lo, 0x37ffffff, v7
	s_mov_b32 s4, 0
                                        ; implicit-def: $vgpr7
	s_and_saveexec_b32 s5, vcc_lo
	s_delay_alu instid0(SALU_CYCLE_1)
	s_xor_b32 s5, exec_lo, s5
	s_cbranch_execz .LBB9_799
; %bb.334:
	v_bfe_u32 v7, v5, 21, 1
	s_mov_b32 s4, exec_lo
	s_delay_alu instid0(VALU_DEP_1) | instskip(NEXT) | instid1(VALU_DEP_1)
	v_add3_u32 v7, v5, v7, 0x88fffff
	v_lshrrev_b32_e32 v7, 21, v7
	s_or_saveexec_b32 s5, s5
                                        ; implicit-def: $sgpr6
	s_delay_alu instid0(SALU_CYCLE_1)
	s_xor_b32 exec_lo, exec_lo, s5
	s_cbranch_execnz .LBB9_800
.LBB9_335:
	s_or_b32 exec_lo, exec_lo, s5
	v_mov_b32_e32 v8, s6
	s_and_saveexec_b32 s5, s4
.LBB9_336:
	v_lshrrev_b32_e32 v5, 24, v5
	s_delay_alu instid0(VALU_DEP_1)
	v_and_or_b32 v8, 0x80, v5, v7
.LBB9_337:
	s_or_b32 exec_lo, exec_lo, s5
.LBB9_338:
	s_delay_alu instid0(SALU_CYCLE_1)
	s_or_b32 exec_lo, exec_lo, s3
	s_mov_b32 s3, 0
	global_store_b8 v[2:3], v8, off
.LBB9_339:
	s_and_b32 vcc_lo, exec_lo, s3
	s_cbranch_vccz .LBB9_349
; %bb.340:
	v_cvt_f32_f64_e32 v5, v[30:31]
	s_mov_b32 s3, exec_lo
                                        ; implicit-def: $vgpr7
	s_delay_alu instid0(VALU_DEP_1) | instskip(NEXT) | instid1(VALU_DEP_1)
	v_and_b32_e32 v8, 0x7fffffff, v5
	v_cmpx_gt_u32_e32 0x43f00000, v8
	s_xor_b32 s3, exec_lo, s3
	s_cbranch_execz .LBB9_346
; %bb.341:
	s_mov_b32 s4, exec_lo
                                        ; implicit-def: $vgpr7
	v_cmpx_lt_u32_e32 0x3c7fffff, v8
	s_xor_b32 s4, exec_lo, s4
; %bb.342:
	v_bfe_u32 v7, v5, 20, 1
	s_delay_alu instid0(VALU_DEP_1) | instskip(NEXT) | instid1(VALU_DEP_1)
	v_add3_u32 v7, v5, v7, 0x407ffff
	v_and_b32_e32 v8, 0xff00000, v7
	v_lshrrev_b32_e32 v7, 20, v7
	s_delay_alu instid0(VALU_DEP_2) | instskip(NEXT) | instid1(VALU_DEP_2)
	v_cmp_ne_u32_e32 vcc_lo, 0x7f00000, v8
	v_cndmask_b32_e32 v7, 0x7e, v7, vcc_lo
; %bb.343:
	s_and_not1_saveexec_b32 s4, s4
; %bb.344:
	v_add_f32_e64 v7, 0x46800000, |v5|
; %bb.345:
	s_or_b32 exec_lo, exec_lo, s4
                                        ; implicit-def: $vgpr8
.LBB9_346:
	s_and_not1_saveexec_b32 s3, s3
; %bb.347:
	v_mov_b32_e32 v7, 0x7f
	v_cmp_lt_u32_e32 vcc_lo, 0x7f800000, v8
	s_delay_alu instid0(VALU_DEP_2)
	v_cndmask_b32_e32 v7, 0x7e, v7, vcc_lo
; %bb.348:
	s_or_b32 exec_lo, exec_lo, s3
	v_lshrrev_b32_e32 v5, 24, v5
	s_delay_alu instid0(VALU_DEP_1)
	v_and_or_b32 v5, 0x80, v5, v7
	global_store_b8 v[2:3], v5, off
.LBB9_349:
	s_mov_b32 s3, 0
.LBB9_350:
	s_delay_alu instid0(SALU_CYCLE_1)
	s_and_not1_b32 vcc_lo, exec_lo, s3
	s_cbranch_vccnz .LBB9_360
; %bb.351:
	v_cvt_f32_f64_e32 v5, v[30:31]
	s_mov_b32 s3, exec_lo
                                        ; implicit-def: $vgpr7
	s_delay_alu instid0(VALU_DEP_1) | instskip(NEXT) | instid1(VALU_DEP_1)
	v_and_b32_e32 v8, 0x7fffffff, v5
	v_cmpx_gt_u32_e32 0x47800000, v8
	s_xor_b32 s3, exec_lo, s3
	s_cbranch_execz .LBB9_357
; %bb.352:
	s_mov_b32 s4, exec_lo
                                        ; implicit-def: $vgpr7
	v_cmpx_lt_u32_e32 0x387fffff, v8
	s_xor_b32 s4, exec_lo, s4
; %bb.353:
	v_bfe_u32 v7, v5, 21, 1
	s_delay_alu instid0(VALU_DEP_1) | instskip(NEXT) | instid1(VALU_DEP_1)
	v_add3_u32 v7, v5, v7, 0x80fffff
	v_lshrrev_b32_e32 v7, 21, v7
; %bb.354:
	s_and_not1_saveexec_b32 s4, s4
; %bb.355:
	v_add_f32_e64 v7, 0x43000000, |v5|
; %bb.356:
	s_or_b32 exec_lo, exec_lo, s4
                                        ; implicit-def: $vgpr8
.LBB9_357:
	s_and_not1_saveexec_b32 s3, s3
; %bb.358:
	v_mov_b32_e32 v7, 0x7f
	v_cmp_lt_u32_e32 vcc_lo, 0x7f800000, v8
	s_delay_alu instid0(VALU_DEP_2)
	v_cndmask_b32_e32 v7, 0x7c, v7, vcc_lo
; %bb.359:
	s_or_b32 exec_lo, exec_lo, s3
	v_lshrrev_b32_e32 v5, 24, v5
	s_delay_alu instid0(VALU_DEP_1)
	v_and_or_b32 v5, 0x80, v5, v7
	global_store_b8 v[2:3], v5, off
.LBB9_360:
	s_mov_b32 s3, 0
	s_mov_b32 s4, -1
.LBB9_361:
	s_and_not1_b32 vcc_lo, exec_lo, s3
	s_mov_b32 s3, 0
	s_cbranch_vccnz .LBB9_368
; %bb.362:
	v_cmp_lt_i16_e32 vcc_lo, 14, v6
	s_mov_b32 s3, -1
	s_cbranch_vccz .LBB9_366
; %bb.363:
	v_cmp_eq_u16_e32 vcc_lo, 15, v6
	s_mov_b32 s0, -1
	s_cbranch_vccz .LBB9_365
; %bb.364:
	v_cvt_f32_f64_e32 v5, v[30:31]
	s_mov_b32 s0, 0
	s_mov_b32 s4, -1
	s_delay_alu instid0(VALU_DEP_1) | instskip(SKIP_1) | instid1(VALU_DEP_2)
	v_bfe_u32 v7, v5, 16, 1
	v_cmp_o_f32_e32 vcc_lo, v5, v5
	v_add3_u32 v7, v5, v7, 0x7fff
	s_delay_alu instid0(VALU_DEP_1) | instskip(NEXT) | instid1(VALU_DEP_1)
	v_lshrrev_b32_e32 v7, 16, v7
	v_cndmask_b32_e32 v5, 0x7fc0, v7, vcc_lo
	global_store_b16 v[2:3], v5, off
.LBB9_365:
	s_mov_b32 s3, 0
.LBB9_366:
	s_delay_alu instid0(SALU_CYCLE_1)
	s_and_b32 vcc_lo, exec_lo, s3
	s_mov_b32 s3, 0
	s_cbranch_vccz .LBB9_368
; %bb.367:
	v_cmp_ne_u16_e64 s0, 11, v6
	s_mov_b32 s3, -1
.LBB9_368:
	s_delay_alu instid0(VALU_DEP_1)
	s_and_b32 vcc_lo, exec_lo, s0
	s_cbranch_vccnz .LBB9_670
; %bb.369:
	s_and_not1_b32 vcc_lo, exec_lo, s3
	s_cbranch_vccnz .LBB9_371
.LBB9_370:
	v_cmp_neq_f64_e32 vcc_lo, 0, v[30:31]
	s_mov_b32 s4, -1
	v_cndmask_b32_e64 v5, 0, 1, vcc_lo
	global_store_b8 v[2:3], v5, off
.LBB9_371:
.LBB9_372:
	s_and_not1_b32 vcc_lo, exec_lo, s4
	s_cbranch_vccz .LBB9_412
	s_branch .LBB9_609
.LBB9_373:
	s_mov_b32 s4, 0
	s_cbranch_execz .LBB9_372
; %bb.374:
	v_cmp_gt_i16_e32 vcc_lo, 5, v6
	s_mov_b32 s0, -1
	s_cbranch_vccnz .LBB9_395
; %bb.375:
	v_cmp_gt_i16_e32 vcc_lo, 8, v6
	s_cbranch_vccnz .LBB9_385
; %bb.376:
	v_cmp_gt_i16_e32 vcc_lo, 9, v6
	s_cbranch_vccnz .LBB9_382
; %bb.377:
	v_cmp_lt_i16_e32 vcc_lo, 9, v6
	s_cbranch_vccz .LBB9_379
; %bb.378:
	v_mov_b32_e32 v32, 0
	s_mov_b32 s0, 0
	s_delay_alu instid0(VALU_DEP_1)
	v_mov_b32_e32 v33, v32
	global_store_b128 v[2:3], v[30:33], off
.LBB9_379:
	s_and_not1_b32 vcc_lo, exec_lo, s0
	s_cbranch_vccnz .LBB9_381
; %bb.380:
	v_cvt_f32_f64_e32 v7, v[30:31]
	v_mov_b32_e32 v8, 0
	global_store_b64 v[2:3], v[7:8], off
.LBB9_381:
	s_mov_b32 s0, 0
.LBB9_382:
	s_delay_alu instid0(SALU_CYCLE_1)
	s_and_not1_b32 vcc_lo, exec_lo, s0
	s_cbranch_vccnz .LBB9_384
; %bb.383:
	v_cvt_f32_f64_e32 v5, v[30:31]
	s_delay_alu instid0(VALU_DEP_1) | instskip(NEXT) | instid1(VALU_DEP_1)
	v_cvt_f16_f32_e32 v5, v5
	v_and_b32_e32 v5, 0xffff, v5
	global_store_b32 v[2:3], v5, off
.LBB9_384:
	s_mov_b32 s0, 0
.LBB9_385:
	s_delay_alu instid0(SALU_CYCLE_1)
	s_and_not1_b32 vcc_lo, exec_lo, s0
	s_cbranch_vccnz .LBB9_394
; %bb.386:
	v_cmp_gt_i16_e32 vcc_lo, 6, v6
	s_mov_b32 s0, -1
	s_cbranch_vccnz .LBB9_392
; %bb.387:
	v_cmp_lt_i16_e32 vcc_lo, 6, v6
	s_cbranch_vccz .LBB9_389
; %bb.388:
	s_mov_b32 s0, 0
	global_store_b64 v[2:3], v[30:31], off
.LBB9_389:
	s_and_not1_b32 vcc_lo, exec_lo, s0
	s_cbranch_vccnz .LBB9_391
; %bb.390:
	v_cvt_f32_f64_e32 v5, v[30:31]
	global_store_b32 v[2:3], v5, off
.LBB9_391:
	s_mov_b32 s0, 0
.LBB9_392:
	s_delay_alu instid0(SALU_CYCLE_1)
	s_and_not1_b32 vcc_lo, exec_lo, s0
	s_cbranch_vccnz .LBB9_394
; %bb.393:
	v_cvt_f32_f64_e32 v5, v[30:31]
	s_delay_alu instid0(VALU_DEP_1)
	v_cvt_f16_f32_e32 v5, v5
	global_store_b16 v[2:3], v5, off
.LBB9_394:
	s_mov_b32 s0, 0
.LBB9_395:
	s_delay_alu instid0(SALU_CYCLE_1)
	s_and_not1_b32 vcc_lo, exec_lo, s0
	s_cbranch_vccnz .LBB9_411
; %bb.396:
	v_cmp_gt_i16_e32 vcc_lo, 2, v6
	s_mov_b32 s0, -1
	s_cbranch_vccnz .LBB9_406
; %bb.397:
	v_cmp_gt_i16_e32 vcc_lo, 3, v6
	s_cbranch_vccnz .LBB9_403
; %bb.398:
	v_cmp_lt_i16_e32 vcc_lo, 3, v6
	s_cbranch_vccz .LBB9_400
; %bb.399:
	v_trunc_f64_e32 v[7:8], v[30:31]
	s_mov_b32 s0, 0
	s_delay_alu instid0(VALU_DEP_1) | instskip(NEXT) | instid1(VALU_DEP_1)
	v_ldexp_f64 v[9:10], v[7:8], 0xffffffe0
	v_floor_f64_e32 v[9:10], v[9:10]
	s_delay_alu instid0(VALU_DEP_1) | instskip(SKIP_1) | instid1(VALU_DEP_2)
	v_fma_f64 v[7:8], 0xc1f00000, v[9:10], v[7:8]
	v_cvt_i32_f64_e32 v9, v[9:10]
	v_cvt_u32_f64_e32 v8, v[7:8]
	global_store_b64 v[2:3], v[8:9], off
.LBB9_400:
	s_and_not1_b32 vcc_lo, exec_lo, s0
	s_cbranch_vccnz .LBB9_402
; %bb.401:
	v_cvt_i32_f64_e32 v5, v[30:31]
	global_store_b32 v[2:3], v5, off
.LBB9_402:
	s_mov_b32 s0, 0
.LBB9_403:
	s_delay_alu instid0(SALU_CYCLE_1)
	s_and_not1_b32 vcc_lo, exec_lo, s0
	s_cbranch_vccnz .LBB9_405
; %bb.404:
	v_cvt_i32_f64_e32 v5, v[30:31]
	global_store_b16 v[2:3], v5, off
.LBB9_405:
	s_mov_b32 s0, 0
.LBB9_406:
	s_delay_alu instid0(SALU_CYCLE_1)
	s_and_not1_b32 vcc_lo, exec_lo, s0
	s_cbranch_vccnz .LBB9_411
; %bb.407:
	v_cmp_lt_i16_e32 vcc_lo, 0, v6
	s_mov_b32 s0, -1
	s_cbranch_vccz .LBB9_409
; %bb.408:
	v_cvt_i32_f64_e32 v5, v[30:31]
	s_mov_b32 s0, 0
	global_store_b8 v[2:3], v5, off
.LBB9_409:
	s_and_not1_b32 vcc_lo, exec_lo, s0
	s_cbranch_vccnz .LBB9_411
; %bb.410:
	v_trunc_f64_e32 v[7:8], v[30:31]
	s_delay_alu instid0(VALU_DEP_1) | instskip(NEXT) | instid1(VALU_DEP_1)
	v_ldexp_f64 v[9:10], v[7:8], 0xffffffe0
	v_floor_f64_e32 v[9:10], v[9:10]
	s_delay_alu instid0(VALU_DEP_1) | instskip(NEXT) | instid1(VALU_DEP_1)
	v_fma_f64 v[7:8], 0xc1f00000, v[9:10], v[7:8]
	v_cvt_u32_f64_e32 v5, v[7:8]
	global_store_b8 v[2:3], v5, off
.LBB9_411:
.LBB9_412:
	v_add_nc_u32_e32 v4, s2, v4
	v_cmp_gt_i16_e32 vcc_lo, 11, v6
	s_delay_alu instid0(VALU_DEP_2) | instskip(SKIP_1) | instid1(VALU_DEP_1)
	v_ashrrev_i32_e32 v3, 31, v4
	v_add_co_u32 v2, s0, s16, v4
	v_add_co_ci_u32_e64 v3, s0, s17, v3, s0
	s_cbranch_vccnz .LBB9_570
; %bb.413:
	v_cmp_lt_i16_e32 vcc_lo, 25, v6
	s_mov_b32 s5, -1
	s_mov_b32 s3, 0
	s_mov_b32 s4, 0
	;; [unrolled: 1-line block ×3, first 2 shown]
	s_cbranch_vccz .LBB9_446
; %bb.414:
	v_cmp_lt_i16_e32 vcc_lo, 28, v6
	s_cbranch_vccz .LBB9_429
; %bb.415:
	v_cmp_lt_i16_e32 vcc_lo, 43, v6
	;; [unrolled: 3-line block ×3, first 2 shown]
	s_cbranch_vccz .LBB9_419
; %bb.417:
	v_cmp_eq_u16_e32 vcc_lo, 46, v6
	s_mov_b32 s0, -1
	s_mov_b32 s5, 0
	s_cbranch_vccz .LBB9_419
; %bb.418:
	v_cvt_f32_f64_e32 v5, v[28:29]
	s_mov_b32 s0, 0
	s_mov_b32 s4, -1
	s_delay_alu instid0(VALU_DEP_1) | instskip(SKIP_1) | instid1(VALU_DEP_2)
	v_bfe_u32 v7, v5, 16, 1
	v_cmp_o_f32_e32 vcc_lo, v5, v5
	v_add3_u32 v7, v5, v7, 0x7fff
	s_delay_alu instid0(VALU_DEP_1) | instskip(NEXT) | instid1(VALU_DEP_1)
	v_lshrrev_b32_e32 v7, 16, v7
	v_cndmask_b32_e32 v5, 0x7fc0, v7, vcc_lo
	global_store_b32 v[2:3], v5, off
.LBB9_419:
	s_and_b32 vcc_lo, exec_lo, s5
	s_cbranch_vccz .LBB9_424
; %bb.420:
	v_cmp_eq_u16_e32 vcc_lo, 44, v6
	s_mov_b32 s0, -1
	s_cbranch_vccz .LBB9_424
; %bb.421:
	v_cvt_f32_f64_e32 v5, v[28:29]
	v_mov_b32_e32 v7, 0xff
	s_mov_b32 s4, exec_lo
	s_delay_alu instid0(VALU_DEP_2) | instskip(NEXT) | instid1(VALU_DEP_1)
	v_bfe_u32 v8, v5, 23, 8
	v_cmpx_ne_u32_e32 0xff, v8
; %bb.422:
	v_and_b32_e32 v7, 0x400000, v5
	v_and_or_b32 v8, 0x3fffff, v5, v8
	v_lshrrev_b32_e32 v5, 23, v5
	s_delay_alu instid0(VALU_DEP_3) | instskip(NEXT) | instid1(VALU_DEP_3)
	v_cmp_ne_u32_e32 vcc_lo, 0, v7
	v_cmp_ne_u32_e64 s0, 0, v8
	s_delay_alu instid0(VALU_DEP_1) | instskip(NEXT) | instid1(SALU_CYCLE_1)
	s_and_b32 s0, vcc_lo, s0
	v_cndmask_b32_e64 v7, 0, 1, s0
	s_delay_alu instid0(VALU_DEP_1)
	v_add_nc_u32_e32 v7, v5, v7
; %bb.423:
	s_or_b32 exec_lo, exec_lo, s4
	s_mov_b32 s0, 0
	s_mov_b32 s4, -1
	global_store_b8 v[2:3], v7, off
.LBB9_424:
	s_mov_b32 s5, 0
.LBB9_425:
	s_delay_alu instid0(SALU_CYCLE_1)
	s_and_b32 vcc_lo, exec_lo, s5
	s_cbranch_vccz .LBB9_428
; %bb.426:
	v_cmp_eq_u16_e32 vcc_lo, 29, v6
	s_mov_b32 s0, -1
	s_cbranch_vccz .LBB9_428
; %bb.427:
	v_trunc_f64_e32 v[7:8], v[28:29]
	s_mov_b32 s0, 0
	s_mov_b32 s4, -1
	s_delay_alu instid0(VALU_DEP_1) | instskip(NEXT) | instid1(VALU_DEP_1)
	v_ldexp_f64 v[9:10], v[7:8], 0xffffffe0
	v_floor_f64_e32 v[9:10], v[9:10]
	s_delay_alu instid0(VALU_DEP_1) | instskip(SKIP_1) | instid1(VALU_DEP_2)
	v_fma_f64 v[7:8], 0xc1f00000, v[9:10], v[7:8]
	v_cvt_u32_f64_e32 v9, v[9:10]
	v_cvt_u32_f64_e32 v8, v[7:8]
	global_store_b64 v[2:3], v[8:9], off
.LBB9_428:
	s_mov_b32 s5, 0
.LBB9_429:
	s_delay_alu instid0(SALU_CYCLE_1)
	s_and_b32 vcc_lo, exec_lo, s5
	s_cbranch_vccz .LBB9_445
; %bb.430:
	v_cmp_gt_i16_e32 vcc_lo, 27, v6
	s_mov_b32 s4, -1
	s_cbranch_vccnz .LBB9_436
; %bb.431:
	v_cvt_u32_f64_e32 v5, v[28:29]
	v_cmp_lt_i16_e32 vcc_lo, 27, v6
	s_cbranch_vccz .LBB9_433
; %bb.432:
	s_mov_b32 s4, 0
	global_store_b32 v[2:3], v5, off
.LBB9_433:
	s_and_not1_b32 vcc_lo, exec_lo, s4
	s_cbranch_vccnz .LBB9_435
; %bb.434:
	global_store_b16 v[2:3], v5, off
.LBB9_435:
	s_mov_b32 s4, 0
.LBB9_436:
	s_delay_alu instid0(SALU_CYCLE_1)
	s_and_not1_b32 vcc_lo, exec_lo, s4
	s_cbranch_vccnz .LBB9_444
; %bb.437:
	v_cvt_f32_f64_e32 v5, v[28:29]
	v_mov_b32_e32 v8, 0x80
	s_mov_b32 s4, exec_lo
	s_delay_alu instid0(VALU_DEP_2) | instskip(NEXT) | instid1(VALU_DEP_1)
	v_and_b32_e32 v7, 0x7fffffff, v5
	v_cmpx_gt_u32_e32 0x43800000, v7
	s_cbranch_execz .LBB9_443
; %bb.438:
	v_cmp_lt_u32_e32 vcc_lo, 0x3bffffff, v7
	s_mov_b32 s5, 0
                                        ; implicit-def: $vgpr7
	s_and_saveexec_b32 s6, vcc_lo
	s_delay_alu instid0(SALU_CYCLE_1)
	s_xor_b32 s6, exec_lo, s6
	s_cbranch_execz .LBB9_801
; %bb.439:
	v_bfe_u32 v7, v5, 20, 1
	s_mov_b32 s5, exec_lo
	s_delay_alu instid0(VALU_DEP_1) | instskip(NEXT) | instid1(VALU_DEP_1)
	v_add3_u32 v7, v5, v7, 0x487ffff
	v_lshrrev_b32_e32 v7, 20, v7
	s_or_saveexec_b32 s6, s6
                                        ; implicit-def: $sgpr7
	s_delay_alu instid0(SALU_CYCLE_1)
	s_xor_b32 exec_lo, exec_lo, s6
	s_cbranch_execnz .LBB9_802
.LBB9_440:
	s_or_b32 exec_lo, exec_lo, s6
	v_mov_b32_e32 v8, s7
	s_and_saveexec_b32 s6, s5
.LBB9_441:
	v_lshrrev_b32_e32 v5, 24, v5
	s_delay_alu instid0(VALU_DEP_1)
	v_and_or_b32 v8, 0x80, v5, v7
.LBB9_442:
	s_or_b32 exec_lo, exec_lo, s6
.LBB9_443:
	s_delay_alu instid0(SALU_CYCLE_1)
	s_or_b32 exec_lo, exec_lo, s4
	global_store_b8 v[2:3], v8, off
.LBB9_444:
	s_mov_b32 s4, -1
.LBB9_445:
	s_mov_b32 s5, 0
.LBB9_446:
	s_delay_alu instid0(SALU_CYCLE_1)
	s_and_b32 vcc_lo, exec_lo, s5
	s_cbranch_vccz .LBB9_486
; %bb.447:
	v_cmp_lt_i16_e32 vcc_lo, 22, v6
	s_mov_b32 s3, -1
	s_cbranch_vccz .LBB9_479
; %bb.448:
	v_cmp_gt_i16_e32 vcc_lo, 24, v6
	s_cbranch_vccnz .LBB9_468
; %bb.449:
	v_cmp_lt_i16_e32 vcc_lo, 24, v6
	s_cbranch_vccz .LBB9_457
; %bb.450:
	v_cvt_f32_f64_e32 v5, v[28:29]
	v_mov_b32_e32 v8, 0x80
	s_mov_b32 s3, exec_lo
	s_delay_alu instid0(VALU_DEP_2) | instskip(NEXT) | instid1(VALU_DEP_1)
	v_and_b32_e32 v7, 0x7fffffff, v5
	v_cmpx_gt_u32_e32 0x47800000, v7
	s_cbranch_execz .LBB9_456
; %bb.451:
	v_cmp_lt_u32_e32 vcc_lo, 0x37ffffff, v7
	s_mov_b32 s4, 0
                                        ; implicit-def: $vgpr7
	s_and_saveexec_b32 s5, vcc_lo
	s_delay_alu instid0(SALU_CYCLE_1)
	s_xor_b32 s5, exec_lo, s5
	s_cbranch_execz .LBB9_934
; %bb.452:
	v_bfe_u32 v7, v5, 21, 1
	s_mov_b32 s4, exec_lo
	s_delay_alu instid0(VALU_DEP_1) | instskip(NEXT) | instid1(VALU_DEP_1)
	v_add3_u32 v7, v5, v7, 0x88fffff
	v_lshrrev_b32_e32 v7, 21, v7
	s_or_saveexec_b32 s5, s5
                                        ; implicit-def: $sgpr6
	s_delay_alu instid0(SALU_CYCLE_1)
	s_xor_b32 exec_lo, exec_lo, s5
	s_cbranch_execnz .LBB9_935
.LBB9_453:
	s_or_b32 exec_lo, exec_lo, s5
	v_mov_b32_e32 v8, s6
	s_and_saveexec_b32 s5, s4
.LBB9_454:
	v_lshrrev_b32_e32 v5, 24, v5
	s_delay_alu instid0(VALU_DEP_1)
	v_and_or_b32 v8, 0x80, v5, v7
.LBB9_455:
	s_or_b32 exec_lo, exec_lo, s5
.LBB9_456:
	s_delay_alu instid0(SALU_CYCLE_1)
	s_or_b32 exec_lo, exec_lo, s3
	s_mov_b32 s3, 0
	global_store_b8 v[2:3], v8, off
.LBB9_457:
	s_and_b32 vcc_lo, exec_lo, s3
	s_cbranch_vccz .LBB9_467
; %bb.458:
	v_cvt_f32_f64_e32 v5, v[28:29]
	s_mov_b32 s3, exec_lo
                                        ; implicit-def: $vgpr7
	s_delay_alu instid0(VALU_DEP_1) | instskip(NEXT) | instid1(VALU_DEP_1)
	v_and_b32_e32 v8, 0x7fffffff, v5
	v_cmpx_gt_u32_e32 0x43f00000, v8
	s_xor_b32 s3, exec_lo, s3
	s_cbranch_execz .LBB9_464
; %bb.459:
	s_mov_b32 s4, exec_lo
                                        ; implicit-def: $vgpr7
	v_cmpx_lt_u32_e32 0x3c7fffff, v8
	s_xor_b32 s4, exec_lo, s4
; %bb.460:
	v_bfe_u32 v7, v5, 20, 1
	s_delay_alu instid0(VALU_DEP_1) | instskip(NEXT) | instid1(VALU_DEP_1)
	v_add3_u32 v7, v5, v7, 0x407ffff
	v_and_b32_e32 v8, 0xff00000, v7
	v_lshrrev_b32_e32 v7, 20, v7
	s_delay_alu instid0(VALU_DEP_2) | instskip(NEXT) | instid1(VALU_DEP_2)
	v_cmp_ne_u32_e32 vcc_lo, 0x7f00000, v8
	v_cndmask_b32_e32 v7, 0x7e, v7, vcc_lo
; %bb.461:
	s_and_not1_saveexec_b32 s4, s4
; %bb.462:
	v_add_f32_e64 v7, 0x46800000, |v5|
; %bb.463:
	s_or_b32 exec_lo, exec_lo, s4
                                        ; implicit-def: $vgpr8
.LBB9_464:
	s_and_not1_saveexec_b32 s3, s3
; %bb.465:
	v_mov_b32_e32 v7, 0x7f
	v_cmp_lt_u32_e32 vcc_lo, 0x7f800000, v8
	s_delay_alu instid0(VALU_DEP_2)
	v_cndmask_b32_e32 v7, 0x7e, v7, vcc_lo
; %bb.466:
	s_or_b32 exec_lo, exec_lo, s3
	v_lshrrev_b32_e32 v5, 24, v5
	s_delay_alu instid0(VALU_DEP_1)
	v_and_or_b32 v5, 0x80, v5, v7
	global_store_b8 v[2:3], v5, off
.LBB9_467:
	s_mov_b32 s3, 0
.LBB9_468:
	s_delay_alu instid0(SALU_CYCLE_1)
	s_and_not1_b32 vcc_lo, exec_lo, s3
	s_cbranch_vccnz .LBB9_478
; %bb.469:
	v_cvt_f32_f64_e32 v5, v[28:29]
	s_mov_b32 s3, exec_lo
                                        ; implicit-def: $vgpr7
	s_delay_alu instid0(VALU_DEP_1) | instskip(NEXT) | instid1(VALU_DEP_1)
	v_and_b32_e32 v8, 0x7fffffff, v5
	v_cmpx_gt_u32_e32 0x47800000, v8
	s_xor_b32 s3, exec_lo, s3
	s_cbranch_execz .LBB9_475
; %bb.470:
	s_mov_b32 s4, exec_lo
                                        ; implicit-def: $vgpr7
	v_cmpx_lt_u32_e32 0x387fffff, v8
	s_xor_b32 s4, exec_lo, s4
; %bb.471:
	v_bfe_u32 v7, v5, 21, 1
	s_delay_alu instid0(VALU_DEP_1) | instskip(NEXT) | instid1(VALU_DEP_1)
	v_add3_u32 v7, v5, v7, 0x80fffff
	v_lshrrev_b32_e32 v7, 21, v7
; %bb.472:
	s_and_not1_saveexec_b32 s4, s4
; %bb.473:
	v_add_f32_e64 v7, 0x43000000, |v5|
; %bb.474:
	s_or_b32 exec_lo, exec_lo, s4
                                        ; implicit-def: $vgpr8
.LBB9_475:
	s_and_not1_saveexec_b32 s3, s3
; %bb.476:
	v_mov_b32_e32 v7, 0x7f
	v_cmp_lt_u32_e32 vcc_lo, 0x7f800000, v8
	s_delay_alu instid0(VALU_DEP_2)
	v_cndmask_b32_e32 v7, 0x7c, v7, vcc_lo
; %bb.477:
	s_or_b32 exec_lo, exec_lo, s3
	v_lshrrev_b32_e32 v5, 24, v5
	s_delay_alu instid0(VALU_DEP_1)
	v_and_or_b32 v5, 0x80, v5, v7
	global_store_b8 v[2:3], v5, off
.LBB9_478:
	s_mov_b32 s3, 0
	s_mov_b32 s4, -1
.LBB9_479:
	s_and_not1_b32 vcc_lo, exec_lo, s3
	s_mov_b32 s3, 0
	s_cbranch_vccnz .LBB9_486
; %bb.480:
	v_cmp_lt_i16_e32 vcc_lo, 14, v6
	s_mov_b32 s3, -1
	s_cbranch_vccz .LBB9_484
; %bb.481:
	v_cmp_eq_u16_e32 vcc_lo, 15, v6
	s_mov_b32 s0, -1
	s_cbranch_vccz .LBB9_483
; %bb.482:
	v_cvt_f32_f64_e32 v5, v[28:29]
	s_mov_b32 s0, 0
	s_mov_b32 s4, -1
	s_delay_alu instid0(VALU_DEP_1) | instskip(SKIP_1) | instid1(VALU_DEP_2)
	v_bfe_u32 v7, v5, 16, 1
	v_cmp_o_f32_e32 vcc_lo, v5, v5
	v_add3_u32 v7, v5, v7, 0x7fff
	s_delay_alu instid0(VALU_DEP_1) | instskip(NEXT) | instid1(VALU_DEP_1)
	v_lshrrev_b32_e32 v7, 16, v7
	v_cndmask_b32_e32 v5, 0x7fc0, v7, vcc_lo
	global_store_b16 v[2:3], v5, off
.LBB9_483:
	s_mov_b32 s3, 0
.LBB9_484:
	s_delay_alu instid0(SALU_CYCLE_1)
	s_and_b32 vcc_lo, exec_lo, s3
	s_mov_b32 s3, 0
	s_cbranch_vccz .LBB9_486
; %bb.485:
	v_cmp_ne_u16_e64 s0, 11, v6
	s_mov_b32 s3, -1
.LBB9_486:
	s_delay_alu instid0(VALU_DEP_1)
	s_and_b32 vcc_lo, exec_lo, s0
	s_cbranch_vccnz .LBB9_805
; %bb.487:
	s_and_not1_b32 vcc_lo, exec_lo, s3
	s_cbranch_vccnz .LBB9_489
.LBB9_488:
	v_cmp_neq_f64_e32 vcc_lo, 0, v[28:29]
	s_mov_b32 s4, -1
	v_cndmask_b32_e64 v5, 0, 1, vcc_lo
	global_store_b8 v[2:3], v5, off
.LBB9_489:
.LBB9_490:
	s_and_not1_b32 vcc_lo, exec_lo, s4
	s_cbranch_vccnz .LBB9_609
.LBB9_491:
	v_add_nc_u32_e32 v2, s2, v4
	v_cmp_gt_i16_e32 vcc_lo, 11, v6
	s_delay_alu instid0(VALU_DEP_2) | instskip(SKIP_1) | instid1(VALU_DEP_1)
	v_ashrrev_i32_e32 v3, 31, v2
	v_add_co_u32 v4, s0, s16, v2
	v_add_co_ci_u32_e64 v5, s0, s17, v3, s0
	s_cbranch_vccnz .LBB9_655
; %bb.492:
	v_cmp_lt_i16_e32 vcc_lo, 25, v6
	s_mov_b32 s3, -1
	s_mov_b32 s2, 0
	s_mov_b32 s0, 0
	s_cbranch_vccz .LBB9_525
; %bb.493:
	v_cmp_lt_i16_e32 vcc_lo, 28, v6
	s_cbranch_vccz .LBB9_509
; %bb.494:
	v_cmp_lt_i16_e32 vcc_lo, 43, v6
	;; [unrolled: 3-line block ×3, first 2 shown]
	s_cbranch_vccz .LBB9_499
; %bb.496:
	v_cmp_eq_u16_e32 vcc_lo, 46, v6
	s_mov_b32 s0, -1
	s_cbranch_vccz .LBB9_498
; %bb.497:
	v_cvt_f32_f64_e32 v2, v[0:1]
	s_mov_b32 s0, 0
	s_delay_alu instid0(VALU_DEP_1) | instskip(SKIP_1) | instid1(VALU_DEP_2)
	v_bfe_u32 v3, v2, 16, 1
	v_cmp_o_f32_e32 vcc_lo, v2, v2
	v_add3_u32 v3, v2, v3, 0x7fff
	s_delay_alu instid0(VALU_DEP_1) | instskip(NEXT) | instid1(VALU_DEP_1)
	v_lshrrev_b32_e32 v3, 16, v3
	v_cndmask_b32_e32 v2, 0x7fc0, v3, vcc_lo
	global_store_b32 v[4:5], v2, off
.LBB9_498:
	s_mov_b32 s3, 0
.LBB9_499:
	s_delay_alu instid0(SALU_CYCLE_1)
	s_and_b32 vcc_lo, exec_lo, s3
	s_cbranch_vccz .LBB9_504
; %bb.500:
	v_cmp_eq_u16_e32 vcc_lo, 44, v6
	s_mov_b32 s0, -1
	s_cbranch_vccz .LBB9_504
; %bb.501:
	v_cvt_f32_f64_e32 v2, v[0:1]
	v_mov_b32_e32 v3, 0xff
	s_mov_b32 s3, exec_lo
	s_delay_alu instid0(VALU_DEP_2) | instskip(NEXT) | instid1(VALU_DEP_1)
	v_bfe_u32 v7, v2, 23, 8
	v_cmpx_ne_u32_e32 0xff, v7
; %bb.502:
	v_and_b32_e32 v3, 0x400000, v2
	v_and_or_b32 v7, 0x3fffff, v2, v7
	v_lshrrev_b32_e32 v2, 23, v2
	s_delay_alu instid0(VALU_DEP_3) | instskip(NEXT) | instid1(VALU_DEP_3)
	v_cmp_ne_u32_e32 vcc_lo, 0, v3
	v_cmp_ne_u32_e64 s0, 0, v7
	s_delay_alu instid0(VALU_DEP_1) | instskip(NEXT) | instid1(SALU_CYCLE_1)
	s_and_b32 s0, vcc_lo, s0
	v_cndmask_b32_e64 v3, 0, 1, s0
	s_delay_alu instid0(VALU_DEP_1)
	v_add_nc_u32_e32 v3, v2, v3
; %bb.503:
	s_or_b32 exec_lo, exec_lo, s3
	s_mov_b32 s0, 0
	global_store_b8 v[4:5], v3, off
.LBB9_504:
	s_mov_b32 s3, 0
.LBB9_505:
	s_delay_alu instid0(SALU_CYCLE_1)
	s_and_b32 vcc_lo, exec_lo, s3
	s_cbranch_vccz .LBB9_508
; %bb.506:
	v_cmp_eq_u16_e32 vcc_lo, 29, v6
	s_mov_b32 s0, -1
	s_cbranch_vccz .LBB9_508
; %bb.507:
	v_trunc_f64_e32 v[2:3], v[0:1]
	s_mov_b32 s0, 0
	s_delay_alu instid0(VALU_DEP_1) | instskip(NEXT) | instid1(VALU_DEP_1)
	v_ldexp_f64 v[7:8], v[2:3], 0xffffffe0
	v_floor_f64_e32 v[7:8], v[7:8]
	s_delay_alu instid0(VALU_DEP_1) | instskip(SKIP_1) | instid1(VALU_DEP_2)
	v_fma_f64 v[2:3], 0xc1f00000, v[7:8], v[2:3]
	v_cvt_u32_f64_e32 v8, v[7:8]
	v_cvt_u32_f64_e32 v7, v[2:3]
	global_store_b64 v[4:5], v[7:8], off
.LBB9_508:
	s_mov_b32 s3, 0
.LBB9_509:
	s_delay_alu instid0(SALU_CYCLE_1)
	s_and_b32 vcc_lo, exec_lo, s3
	s_cbranch_vccz .LBB9_524
; %bb.510:
	v_cmp_gt_i16_e32 vcc_lo, 27, v6
	s_mov_b32 s3, -1
	s_cbranch_vccnz .LBB9_516
; %bb.511:
	v_cvt_u32_f64_e32 v2, v[0:1]
	v_cmp_lt_i16_e32 vcc_lo, 27, v6
	s_cbranch_vccz .LBB9_513
; %bb.512:
	s_mov_b32 s3, 0
	global_store_b32 v[4:5], v2, off
.LBB9_513:
	s_and_not1_b32 vcc_lo, exec_lo, s3
	s_cbranch_vccnz .LBB9_515
; %bb.514:
	global_store_b16 v[4:5], v2, off
.LBB9_515:
	s_mov_b32 s3, 0
.LBB9_516:
	s_delay_alu instid0(SALU_CYCLE_1)
	s_and_not1_b32 vcc_lo, exec_lo, s3
	s_cbranch_vccnz .LBB9_524
; %bb.517:
	v_cvt_f32_f64_e32 v2, v[0:1]
	v_mov_b32_e32 v7, 0x80
	s_mov_b32 s3, exec_lo
	s_delay_alu instid0(VALU_DEP_2) | instskip(NEXT) | instid1(VALU_DEP_1)
	v_and_b32_e32 v3, 0x7fffffff, v2
	v_cmpx_gt_u32_e32 0x43800000, v3
	s_cbranch_execz .LBB9_523
; %bb.518:
	v_cmp_lt_u32_e32 vcc_lo, 0x3bffffff, v3
	s_mov_b32 s4, 0
                                        ; implicit-def: $vgpr3
	s_and_saveexec_b32 s5, vcc_lo
	s_delay_alu instid0(SALU_CYCLE_1)
	s_xor_b32 s5, exec_lo, s5
	s_cbranch_execz .LBB9_936
; %bb.519:
	v_bfe_u32 v3, v2, 20, 1
	s_mov_b32 s4, exec_lo
	s_delay_alu instid0(VALU_DEP_1) | instskip(NEXT) | instid1(VALU_DEP_1)
	v_add3_u32 v3, v2, v3, 0x487ffff
	v_lshrrev_b32_e32 v3, 20, v3
	s_or_saveexec_b32 s5, s5
                                        ; implicit-def: $sgpr6
	s_delay_alu instid0(SALU_CYCLE_1)
	s_xor_b32 exec_lo, exec_lo, s5
	s_cbranch_execnz .LBB9_937
.LBB9_520:
	s_or_b32 exec_lo, exec_lo, s5
	v_mov_b32_e32 v7, s6
	s_and_saveexec_b32 s5, s4
.LBB9_521:
	v_lshrrev_b32_e32 v2, 24, v2
	s_delay_alu instid0(VALU_DEP_1)
	v_and_or_b32 v7, 0x80, v2, v3
.LBB9_522:
	s_or_b32 exec_lo, exec_lo, s5
.LBB9_523:
	s_delay_alu instid0(SALU_CYCLE_1)
	s_or_b32 exec_lo, exec_lo, s3
	global_store_b8 v[4:5], v7, off
.LBB9_524:
	s_mov_b32 s3, 0
.LBB9_525:
	s_delay_alu instid0(SALU_CYCLE_1)
	s_and_b32 vcc_lo, exec_lo, s3
	s_cbranch_vccz .LBB9_565
; %bb.526:
	v_cmp_lt_i16_e32 vcc_lo, 22, v6
	s_mov_b32 s2, -1
	s_cbranch_vccz .LBB9_558
; %bb.527:
	v_cmp_gt_i16_e32 vcc_lo, 24, v6
	s_cbranch_vccnz .LBB9_547
; %bb.528:
	v_cmp_lt_i16_e32 vcc_lo, 24, v6
	s_cbranch_vccz .LBB9_536
; %bb.529:
	v_cvt_f32_f64_e32 v2, v[0:1]
	v_mov_b32_e32 v7, 0x80
	s_mov_b32 s2, exec_lo
	s_delay_alu instid0(VALU_DEP_2) | instskip(NEXT) | instid1(VALU_DEP_1)
	v_and_b32_e32 v3, 0x7fffffff, v2
	v_cmpx_gt_u32_e32 0x47800000, v3
	s_cbranch_execz .LBB9_535
; %bb.530:
	v_cmp_lt_u32_e32 vcc_lo, 0x37ffffff, v3
	s_mov_b32 s3, 0
                                        ; implicit-def: $vgpr3
	s_and_saveexec_b32 s4, vcc_lo
	s_delay_alu instid0(SALU_CYCLE_1)
	s_xor_b32 s4, exec_lo, s4
	s_cbranch_execz .LBB9_944
; %bb.531:
	v_bfe_u32 v3, v2, 21, 1
	s_mov_b32 s3, exec_lo
	s_delay_alu instid0(VALU_DEP_1) | instskip(NEXT) | instid1(VALU_DEP_1)
	v_add3_u32 v3, v2, v3, 0x88fffff
	v_lshrrev_b32_e32 v3, 21, v3
	s_or_saveexec_b32 s4, s4
                                        ; implicit-def: $sgpr5
	s_delay_alu instid0(SALU_CYCLE_1)
	s_xor_b32 exec_lo, exec_lo, s4
	s_cbranch_execnz .LBB9_945
.LBB9_532:
	s_or_b32 exec_lo, exec_lo, s4
	v_mov_b32_e32 v7, s5
	s_and_saveexec_b32 s4, s3
.LBB9_533:
	v_lshrrev_b32_e32 v2, 24, v2
	s_delay_alu instid0(VALU_DEP_1)
	v_and_or_b32 v7, 0x80, v2, v3
.LBB9_534:
	s_or_b32 exec_lo, exec_lo, s4
.LBB9_535:
	s_delay_alu instid0(SALU_CYCLE_1)
	s_or_b32 exec_lo, exec_lo, s2
	s_mov_b32 s2, 0
	global_store_b8 v[4:5], v7, off
.LBB9_536:
	s_and_b32 vcc_lo, exec_lo, s2
	s_cbranch_vccz .LBB9_546
; %bb.537:
	v_cvt_f32_f64_e32 v2, v[0:1]
	s_mov_b32 s2, exec_lo
                                        ; implicit-def: $vgpr3
	s_delay_alu instid0(VALU_DEP_1) | instskip(NEXT) | instid1(VALU_DEP_1)
	v_and_b32_e32 v7, 0x7fffffff, v2
	v_cmpx_gt_u32_e32 0x43f00000, v7
	s_xor_b32 s2, exec_lo, s2
	s_cbranch_execz .LBB9_543
; %bb.538:
	s_mov_b32 s3, exec_lo
                                        ; implicit-def: $vgpr3
	v_cmpx_lt_u32_e32 0x3c7fffff, v7
	s_xor_b32 s3, exec_lo, s3
; %bb.539:
	v_bfe_u32 v3, v2, 20, 1
	s_delay_alu instid0(VALU_DEP_1) | instskip(NEXT) | instid1(VALU_DEP_1)
	v_add3_u32 v3, v2, v3, 0x407ffff
	v_and_b32_e32 v7, 0xff00000, v3
	v_lshrrev_b32_e32 v3, 20, v3
	s_delay_alu instid0(VALU_DEP_2) | instskip(NEXT) | instid1(VALU_DEP_2)
	v_cmp_ne_u32_e32 vcc_lo, 0x7f00000, v7
	v_cndmask_b32_e32 v3, 0x7e, v3, vcc_lo
; %bb.540:
	s_and_not1_saveexec_b32 s3, s3
; %bb.541:
	v_add_f32_e64 v3, 0x46800000, |v2|
; %bb.542:
	s_or_b32 exec_lo, exec_lo, s3
                                        ; implicit-def: $vgpr7
.LBB9_543:
	s_and_not1_saveexec_b32 s2, s2
; %bb.544:
	v_mov_b32_e32 v3, 0x7f
	v_cmp_lt_u32_e32 vcc_lo, 0x7f800000, v7
	s_delay_alu instid0(VALU_DEP_2)
	v_cndmask_b32_e32 v3, 0x7e, v3, vcc_lo
; %bb.545:
	s_or_b32 exec_lo, exec_lo, s2
	v_lshrrev_b32_e32 v2, 24, v2
	s_delay_alu instid0(VALU_DEP_1)
	v_and_or_b32 v2, 0x80, v2, v3
	global_store_b8 v[4:5], v2, off
.LBB9_546:
	s_mov_b32 s2, 0
.LBB9_547:
	s_delay_alu instid0(SALU_CYCLE_1)
	s_and_not1_b32 vcc_lo, exec_lo, s2
	s_cbranch_vccnz .LBB9_557
; %bb.548:
	v_cvt_f32_f64_e32 v2, v[0:1]
	s_mov_b32 s2, exec_lo
                                        ; implicit-def: $vgpr3
	s_delay_alu instid0(VALU_DEP_1) | instskip(NEXT) | instid1(VALU_DEP_1)
	v_and_b32_e32 v7, 0x7fffffff, v2
	v_cmpx_gt_u32_e32 0x47800000, v7
	s_xor_b32 s2, exec_lo, s2
	s_cbranch_execz .LBB9_554
; %bb.549:
	s_mov_b32 s3, exec_lo
                                        ; implicit-def: $vgpr3
	v_cmpx_lt_u32_e32 0x387fffff, v7
	s_xor_b32 s3, exec_lo, s3
; %bb.550:
	v_bfe_u32 v3, v2, 21, 1
	s_delay_alu instid0(VALU_DEP_1) | instskip(NEXT) | instid1(VALU_DEP_1)
	v_add3_u32 v3, v2, v3, 0x80fffff
	v_lshrrev_b32_e32 v3, 21, v3
; %bb.551:
	s_and_not1_saveexec_b32 s3, s3
; %bb.552:
	v_add_f32_e64 v3, 0x43000000, |v2|
; %bb.553:
	s_or_b32 exec_lo, exec_lo, s3
                                        ; implicit-def: $vgpr7
.LBB9_554:
	s_and_not1_saveexec_b32 s2, s2
; %bb.555:
	v_mov_b32_e32 v3, 0x7f
	v_cmp_lt_u32_e32 vcc_lo, 0x7f800000, v7
	s_delay_alu instid0(VALU_DEP_2)
	v_cndmask_b32_e32 v3, 0x7c, v3, vcc_lo
; %bb.556:
	s_or_b32 exec_lo, exec_lo, s2
	v_lshrrev_b32_e32 v2, 24, v2
	s_delay_alu instid0(VALU_DEP_1)
	v_and_or_b32 v2, 0x80, v2, v3
	global_store_b8 v[4:5], v2, off
.LBB9_557:
	s_mov_b32 s2, 0
.LBB9_558:
	s_delay_alu instid0(SALU_CYCLE_1)
	s_and_not1_b32 vcc_lo, exec_lo, s2
	s_mov_b32 s2, 0
	s_cbranch_vccnz .LBB9_565
; %bb.559:
	v_cmp_lt_i16_e32 vcc_lo, 14, v6
	s_mov_b32 s2, -1
	s_cbranch_vccz .LBB9_563
; %bb.560:
	v_cmp_eq_u16_e32 vcc_lo, 15, v6
	s_mov_b32 s0, -1
	s_cbranch_vccz .LBB9_562
; %bb.561:
	v_cvt_f32_f64_e32 v2, v[0:1]
	s_mov_b32 s0, 0
	s_delay_alu instid0(VALU_DEP_1) | instskip(SKIP_1) | instid1(VALU_DEP_2)
	v_bfe_u32 v3, v2, 16, 1
	v_cmp_o_f32_e32 vcc_lo, v2, v2
	v_add3_u32 v3, v2, v3, 0x7fff
	s_delay_alu instid0(VALU_DEP_1) | instskip(NEXT) | instid1(VALU_DEP_1)
	v_lshrrev_b32_e32 v3, 16, v3
	v_cndmask_b32_e32 v2, 0x7fc0, v3, vcc_lo
	global_store_b16 v[4:5], v2, off
.LBB9_562:
	s_mov_b32 s2, 0
.LBB9_563:
	s_delay_alu instid0(SALU_CYCLE_1)
	s_and_b32 vcc_lo, exec_lo, s2
	s_mov_b32 s2, 0
	s_cbranch_vccz .LBB9_565
; %bb.564:
	v_cmp_ne_u16_e64 s0, 11, v6
	s_mov_b32 s2, -1
.LBB9_565:
	s_delay_alu instid0(VALU_DEP_1)
	s_and_b32 vcc_lo, exec_lo, s0
	s_cbranch_vccnz .LBB9_940
.LBB9_566:
	s_mov_b32 s0, 0
	s_branch .LBB9_610
.LBB9_567:
	s_mov_b32 s1, 0
	s_mov_b32 s0, s20
	s_cbranch_execnz .LBB9_744
.LBB9_568:
	s_and_not1_b32 vcc_lo, exec_lo, s1
	s_cbranch_vccnz .LBB9_782
.LBB9_569:
	v_add_nc_u32_e32 v34, 0x80, v34
	s_mov_b32 s1, -1
	s_branch .LBB9_783
.LBB9_570:
	s_mov_b32 s4, 0
	s_cbranch_execz .LBB9_490
; %bb.571:
	v_cmp_gt_i16_e32 vcc_lo, 5, v6
	s_mov_b32 s0, -1
	s_cbranch_vccnz .LBB9_592
; %bb.572:
	v_cmp_gt_i16_e32 vcc_lo, 8, v6
	s_cbranch_vccnz .LBB9_582
; %bb.573:
	v_cmp_gt_i16_e32 vcc_lo, 9, v6
	s_cbranch_vccnz .LBB9_579
; %bb.574:
	v_cmp_lt_i16_e32 vcc_lo, 9, v6
	s_cbranch_vccz .LBB9_576
; %bb.575:
	v_mov_b32_e32 v30, 0
	s_mov_b32 s0, 0
	s_delay_alu instid0(VALU_DEP_1)
	v_mov_b32_e32 v31, v30
	global_store_b128 v[2:3], v[28:31], off
.LBB9_576:
	s_and_not1_b32 vcc_lo, exec_lo, s0
	s_cbranch_vccnz .LBB9_578
; %bb.577:
	v_cvt_f32_f64_e32 v7, v[28:29]
	v_mov_b32_e32 v8, 0
	global_store_b64 v[2:3], v[7:8], off
.LBB9_578:
	s_mov_b32 s0, 0
.LBB9_579:
	s_delay_alu instid0(SALU_CYCLE_1)
	s_and_not1_b32 vcc_lo, exec_lo, s0
	s_cbranch_vccnz .LBB9_581
; %bb.580:
	v_cvt_f32_f64_e32 v5, v[28:29]
	s_delay_alu instid0(VALU_DEP_1) | instskip(NEXT) | instid1(VALU_DEP_1)
	v_cvt_f16_f32_e32 v5, v5
	v_and_b32_e32 v5, 0xffff, v5
	global_store_b32 v[2:3], v5, off
.LBB9_581:
	s_mov_b32 s0, 0
.LBB9_582:
	s_delay_alu instid0(SALU_CYCLE_1)
	s_and_not1_b32 vcc_lo, exec_lo, s0
	s_cbranch_vccnz .LBB9_591
; %bb.583:
	v_cmp_gt_i16_e32 vcc_lo, 6, v6
	s_mov_b32 s0, -1
	s_cbranch_vccnz .LBB9_589
; %bb.584:
	v_cmp_lt_i16_e32 vcc_lo, 6, v6
	s_cbranch_vccz .LBB9_586
; %bb.585:
	s_mov_b32 s0, 0
	global_store_b64 v[2:3], v[28:29], off
.LBB9_586:
	s_and_not1_b32 vcc_lo, exec_lo, s0
	s_cbranch_vccnz .LBB9_588
; %bb.587:
	v_cvt_f32_f64_e32 v5, v[28:29]
	global_store_b32 v[2:3], v5, off
.LBB9_588:
	s_mov_b32 s0, 0
.LBB9_589:
	s_delay_alu instid0(SALU_CYCLE_1)
	s_and_not1_b32 vcc_lo, exec_lo, s0
	s_cbranch_vccnz .LBB9_591
; %bb.590:
	v_cvt_f32_f64_e32 v5, v[28:29]
	s_delay_alu instid0(VALU_DEP_1)
	v_cvt_f16_f32_e32 v5, v5
	global_store_b16 v[2:3], v5, off
.LBB9_591:
	s_mov_b32 s0, 0
.LBB9_592:
	s_delay_alu instid0(SALU_CYCLE_1)
	s_and_not1_b32 vcc_lo, exec_lo, s0
	s_cbranch_vccnz .LBB9_608
; %bb.593:
	v_cmp_gt_i16_e32 vcc_lo, 2, v6
	s_mov_b32 s0, -1
	s_cbranch_vccnz .LBB9_603
; %bb.594:
	v_cmp_gt_i16_e32 vcc_lo, 3, v6
	s_cbranch_vccnz .LBB9_600
; %bb.595:
	v_cmp_lt_i16_e32 vcc_lo, 3, v6
	s_cbranch_vccz .LBB9_597
; %bb.596:
	v_trunc_f64_e32 v[7:8], v[28:29]
	s_mov_b32 s0, 0
	s_delay_alu instid0(VALU_DEP_1) | instskip(NEXT) | instid1(VALU_DEP_1)
	v_ldexp_f64 v[9:10], v[7:8], 0xffffffe0
	v_floor_f64_e32 v[9:10], v[9:10]
	s_delay_alu instid0(VALU_DEP_1) | instskip(SKIP_1) | instid1(VALU_DEP_2)
	v_fma_f64 v[7:8], 0xc1f00000, v[9:10], v[7:8]
	v_cvt_i32_f64_e32 v9, v[9:10]
	v_cvt_u32_f64_e32 v8, v[7:8]
	global_store_b64 v[2:3], v[8:9], off
.LBB9_597:
	s_and_not1_b32 vcc_lo, exec_lo, s0
	s_cbranch_vccnz .LBB9_599
; %bb.598:
	v_cvt_i32_f64_e32 v5, v[28:29]
	global_store_b32 v[2:3], v5, off
.LBB9_599:
	s_mov_b32 s0, 0
.LBB9_600:
	s_delay_alu instid0(SALU_CYCLE_1)
	s_and_not1_b32 vcc_lo, exec_lo, s0
	s_cbranch_vccnz .LBB9_602
; %bb.601:
	v_cvt_i32_f64_e32 v5, v[28:29]
	global_store_b16 v[2:3], v5, off
.LBB9_602:
	s_mov_b32 s0, 0
.LBB9_603:
	s_delay_alu instid0(SALU_CYCLE_1)
	s_and_not1_b32 vcc_lo, exec_lo, s0
	s_cbranch_vccnz .LBB9_608
; %bb.604:
	v_cmp_lt_i16_e32 vcc_lo, 0, v6
	s_mov_b32 s0, -1
	s_cbranch_vccz .LBB9_606
; %bb.605:
	v_cvt_i32_f64_e32 v5, v[28:29]
	s_mov_b32 s0, 0
	global_store_b8 v[2:3], v5, off
.LBB9_606:
	s_and_not1_b32 vcc_lo, exec_lo, s0
	s_cbranch_vccnz .LBB9_608
; %bb.607:
	v_trunc_f64_e32 v[7:8], v[28:29]
	s_delay_alu instid0(VALU_DEP_1) | instskip(NEXT) | instid1(VALU_DEP_1)
	v_ldexp_f64 v[9:10], v[7:8], 0xffffffe0
	v_floor_f64_e32 v[9:10], v[9:10]
	s_delay_alu instid0(VALU_DEP_1) | instskip(NEXT) | instid1(VALU_DEP_1)
	v_fma_f64 v[7:8], 0xc1f00000, v[9:10], v[7:8]
	v_cvt_u32_f64_e32 v5, v[7:8]
	global_store_b8 v[2:3], v5, off
.LBB9_608:
	s_branch .LBB9_491
.LBB9_609:
	s_mov_b32 s0, 0
	s_mov_b32 s2, 0
                                        ; implicit-def: $vgpr6
                                        ; implicit-def: $vgpr4_vgpr5
.LBB9_610:
	s_and_not1_b32 s3, s20, exec_lo
	s_and_b32 s1, s1, exec_lo
	s_and_b32 s0, s0, exec_lo
	;; [unrolled: 1-line block ×3, first 2 shown]
	s_or_b32 s20, s3, s1
.LBB9_611:
	s_or_b32 exec_lo, exec_lo, s15
	s_and_saveexec_b32 s1, s20
	s_cbranch_execz .LBB9_614
; %bb.612:
	; divergent unreachable
	s_or_b32 exec_lo, exec_lo, s1
	s_and_saveexec_b32 s1, s14
	s_delay_alu instid0(SALU_CYCLE_1)
	s_xor_b32 s1, exec_lo, s1
	s_cbranch_execnz .LBB9_615
.LBB9_613:
	s_or_b32 exec_lo, exec_lo, s1
	s_and_saveexec_b32 s1, s0
	s_cbranch_execnz .LBB9_616
	s_branch .LBB9_653
.LBB9_614:
	s_or_b32 exec_lo, exec_lo, s1
	s_and_saveexec_b32 s1, s14
	s_delay_alu instid0(SALU_CYCLE_1)
	s_xor_b32 s1, exec_lo, s1
	s_cbranch_execz .LBB9_613
.LBB9_615:
	v_cmp_neq_f64_e32 vcc_lo, 0, v[0:1]
	v_cndmask_b32_e64 v2, 0, 1, vcc_lo
	global_store_b8 v[4:5], v2, off
	s_or_b32 exec_lo, exec_lo, s1
	s_and_saveexec_b32 s1, s0
	s_cbranch_execz .LBB9_653
.LBB9_616:
	v_cmp_gt_i16_e32 vcc_lo, 5, v6
	s_mov_b32 s0, -1
	s_cbranch_vccnz .LBB9_637
; %bb.617:
	v_cmp_gt_i16_e32 vcc_lo, 8, v6
	s_cbranch_vccnz .LBB9_627
; %bb.618:
	v_cmp_gt_i16_e32 vcc_lo, 9, v6
	s_cbranch_vccnz .LBB9_624
; %bb.619:
	v_cmp_lt_i16_e32 vcc_lo, 9, v6
	s_cbranch_vccz .LBB9_621
; %bb.620:
	v_mov_b32_e32 v2, 0
	s_mov_b32 s0, 0
	s_delay_alu instid0(VALU_DEP_1)
	v_mov_b32_e32 v3, v2
	global_store_b128 v[4:5], v[0:3], off
.LBB9_621:
	s_and_not1_b32 vcc_lo, exec_lo, s0
	s_cbranch_vccnz .LBB9_623
; %bb.622:
	v_cvt_f32_f64_e32 v2, v[0:1]
	v_mov_b32_e32 v3, 0
	global_store_b64 v[4:5], v[2:3], off
.LBB9_623:
	s_mov_b32 s0, 0
.LBB9_624:
	s_delay_alu instid0(SALU_CYCLE_1)
	s_and_not1_b32 vcc_lo, exec_lo, s0
	s_cbranch_vccnz .LBB9_626
; %bb.625:
	v_cvt_f32_f64_e32 v2, v[0:1]
	s_delay_alu instid0(VALU_DEP_1) | instskip(NEXT) | instid1(VALU_DEP_1)
	v_cvt_f16_f32_e32 v2, v2
	v_and_b32_e32 v2, 0xffff, v2
	global_store_b32 v[4:5], v2, off
.LBB9_626:
	s_mov_b32 s0, 0
.LBB9_627:
	s_delay_alu instid0(SALU_CYCLE_1)
	s_and_not1_b32 vcc_lo, exec_lo, s0
	s_cbranch_vccnz .LBB9_636
; %bb.628:
	v_cmp_gt_i16_e32 vcc_lo, 6, v6
	s_mov_b32 s0, -1
	s_cbranch_vccnz .LBB9_634
; %bb.629:
	v_cmp_lt_i16_e32 vcc_lo, 6, v6
	s_cbranch_vccz .LBB9_631
; %bb.630:
	s_mov_b32 s0, 0
	global_store_b64 v[4:5], v[0:1], off
.LBB9_631:
	s_and_not1_b32 vcc_lo, exec_lo, s0
	s_cbranch_vccnz .LBB9_633
; %bb.632:
	v_cvt_f32_f64_e32 v2, v[0:1]
	global_store_b32 v[4:5], v2, off
.LBB9_633:
	s_mov_b32 s0, 0
.LBB9_634:
	s_delay_alu instid0(SALU_CYCLE_1)
	s_and_not1_b32 vcc_lo, exec_lo, s0
	s_cbranch_vccnz .LBB9_636
; %bb.635:
	v_cvt_f32_f64_e32 v2, v[0:1]
	s_delay_alu instid0(VALU_DEP_1)
	v_cvt_f16_f32_e32 v2, v2
	global_store_b16 v[4:5], v2, off
.LBB9_636:
	s_mov_b32 s0, 0
.LBB9_637:
	s_delay_alu instid0(SALU_CYCLE_1)
	s_and_not1_b32 vcc_lo, exec_lo, s0
	s_cbranch_vccnz .LBB9_653
; %bb.638:
	v_cmp_gt_i16_e32 vcc_lo, 2, v6
	s_mov_b32 s0, -1
	s_cbranch_vccnz .LBB9_648
; %bb.639:
	v_cmp_gt_i16_e32 vcc_lo, 3, v6
	s_cbranch_vccnz .LBB9_645
; %bb.640:
	v_cmp_lt_i16_e32 vcc_lo, 3, v6
	s_cbranch_vccz .LBB9_642
; %bb.641:
	v_trunc_f64_e32 v[2:3], v[0:1]
	s_mov_b32 s0, 0
	s_delay_alu instid0(VALU_DEP_1) | instskip(NEXT) | instid1(VALU_DEP_1)
	v_ldexp_f64 v[7:8], v[2:3], 0xffffffe0
	v_floor_f64_e32 v[7:8], v[7:8]
	s_delay_alu instid0(VALU_DEP_1) | instskip(SKIP_1) | instid1(VALU_DEP_2)
	v_fma_f64 v[2:3], 0xc1f00000, v[7:8], v[2:3]
	v_cvt_i32_f64_e32 v8, v[7:8]
	v_cvt_u32_f64_e32 v7, v[2:3]
	global_store_b64 v[4:5], v[7:8], off
.LBB9_642:
	s_and_not1_b32 vcc_lo, exec_lo, s0
	s_cbranch_vccnz .LBB9_644
; %bb.643:
	v_cvt_i32_f64_e32 v2, v[0:1]
	global_store_b32 v[4:5], v2, off
.LBB9_644:
	s_mov_b32 s0, 0
.LBB9_645:
	s_delay_alu instid0(SALU_CYCLE_1)
	s_and_not1_b32 vcc_lo, exec_lo, s0
	s_cbranch_vccnz .LBB9_647
; %bb.646:
	v_cvt_i32_f64_e32 v2, v[0:1]
	global_store_b16 v[4:5], v2, off
.LBB9_647:
	s_mov_b32 s0, 0
.LBB9_648:
	s_delay_alu instid0(SALU_CYCLE_1)
	s_and_not1_b32 vcc_lo, exec_lo, s0
	s_cbranch_vccnz .LBB9_653
; %bb.649:
	v_cmp_lt_i16_e32 vcc_lo, 0, v6
	s_mov_b32 s0, -1
	s_cbranch_vccz .LBB9_651
; %bb.650:
	v_cvt_i32_f64_e32 v2, v[0:1]
	s_mov_b32 s0, 0
	global_store_b8 v[4:5], v2, off
.LBB9_651:
	s_and_not1_b32 vcc_lo, exec_lo, s0
	s_cbranch_vccnz .LBB9_653
; %bb.652:
	v_trunc_f64_e32 v[0:1], v[0:1]
	s_delay_alu instid0(VALU_DEP_1) | instskip(NEXT) | instid1(VALU_DEP_1)
	v_ldexp_f64 v[2:3], v[0:1], 0xffffffe0
	v_floor_f64_e32 v[2:3], v[2:3]
	s_delay_alu instid0(VALU_DEP_1) | instskip(NEXT) | instid1(VALU_DEP_1)
	v_fma_f64 v[0:1], 0xc1f00000, v[2:3], v[0:1]
	v_cvt_u32_f64_e32 v0, v[0:1]
	global_store_b8 v[4:5], v0, off
	s_endpgm
.LBB9_653:
	s_endpgm
.LBB9_654:
	s_mov_b32 s2, -1
	s_mov_b32 s1, 0
	s_mov_b32 s0, s20
	s_branch .LBB9_702
.LBB9_655:
	s_mov_b32 s2, 0
	s_mov_b32 s0, -1
	s_branch .LBB9_610
.LBB9_656:
	s_mov_b32 s2, -1
	s_mov_b32 s1, 0
	s_mov_b32 s0, s20
	s_branch .LBB9_685
.LBB9_657:
	s_or_saveexec_b32 s4, s4
                                        ; implicit-def: $sgpr5
	s_delay_alu instid0(SALU_CYCLE_1)
	s_xor_b32 exec_lo, exec_lo, s4
	s_cbranch_execz .LBB9_204
.LBB9_658:
	v_add_f32_e64 v7, 0x46000000, |v5|
	s_and_not1_b32 s3, s3, exec_lo
	s_mov_b32 s5, 0
	s_delay_alu instid0(VALU_DEP_1) | instskip(NEXT) | instid1(VALU_DEP_1)
	v_and_b32_e32 v7, 0xff, v7
	v_cmp_ne_u32_e32 vcc_lo, 0, v7
	s_and_b32 s6, vcc_lo, exec_lo
	s_delay_alu instid0(SALU_CYCLE_1)
	s_or_b32 s3, s3, s6
	s_or_b32 exec_lo, exec_lo, s4
	v_mov_b32_e32 v8, s5
	s_and_saveexec_b32 s4, s3
	s_cbranch_execnz .LBB9_205
	s_branch .LBB9_206
.LBB9_659:
	s_cbranch_execnz .LBB9_668
; %bb.660:
	s_or_b32 s1, s20, exec_lo
	s_cbranch_execz .LBB9_252
	s_branch .LBB9_253
.LBB9_661:
	s_or_saveexec_b32 s3, s3
                                        ; implicit-def: $sgpr4
	s_delay_alu instid0(SALU_CYCLE_1)
	s_xor_b32 exec_lo, exec_lo, s3
	s_cbranch_execz .LBB9_37
.LBB9_662:
	v_add_f32_e64 v3, 0x46000000, |v2|
	s_and_not1_b32 s2, s2, exec_lo
	s_mov_b32 s4, 0
	s_delay_alu instid0(VALU_DEP_1) | instskip(NEXT) | instid1(VALU_DEP_1)
	v_and_b32_e32 v3, 0xff, v3
	v_cmp_ne_u32_e32 vcc_lo, 0, v3
	s_and_b32 s5, vcc_lo, exec_lo
	s_delay_alu instid0(SALU_CYCLE_1)
	s_or_b32 s2, s2, s5
	s_or_b32 exec_lo, exec_lo, s3
	v_mov_b32_e32 v7, s4
	s_and_saveexec_b32 s3, s2
	s_cbranch_execnz .LBB9_38
	s_branch .LBB9_39
.LBB9_663:
	s_mov_b32 s2, -1
	s_mov_b32 s1, 0
	s_mov_b32 s0, s20
	s_branch .LBB9_681
.LBB9_664:
	s_or_saveexec_b32 s3, s3
                                        ; implicit-def: $sgpr4
	s_delay_alu instid0(SALU_CYCLE_1)
	s_xor_b32 exec_lo, exec_lo, s3
	s_cbranch_execz .LBB9_217
.LBB9_665:
	v_add_f32_e64 v7, 0x42800000, |v5|
	s_and_not1_b32 s2, s2, exec_lo
	s_mov_b32 s4, 0
	s_delay_alu instid0(VALU_DEP_1) | instskip(NEXT) | instid1(VALU_DEP_1)
	v_and_b32_e32 v7, 0xff, v7
	v_cmp_ne_u32_e32 vcc_lo, 0, v7
	s_and_b32 s5, vcc_lo, exec_lo
	s_delay_alu instid0(SALU_CYCLE_1)
	s_or_b32 s2, s2, s5
	s_or_b32 exec_lo, exec_lo, s3
	v_mov_b32_e32 v8, s4
	s_and_saveexec_b32 s3, s2
	s_cbranch_execnz .LBB9_218
	s_branch .LBB9_219
.LBB9_666:
	s_or_saveexec_b32 s6, s6
                                        ; implicit-def: $sgpr7
	s_delay_alu instid0(SALU_CYCLE_1)
	s_xor_b32 exec_lo, exec_lo, s6
	s_cbranch_execz .LBB9_322
.LBB9_667:
	v_add_f32_e64 v7, 0x46000000, |v5|
	s_and_not1_b32 s5, s5, exec_lo
	s_mov_b32 s7, 0
	s_delay_alu instid0(VALU_DEP_1) | instskip(NEXT) | instid1(VALU_DEP_1)
	v_and_b32_e32 v7, 0xff, v7
	v_cmp_ne_u32_e32 vcc_lo, 0, v7
	s_and_b32 s8, vcc_lo, exec_lo
	s_delay_alu instid0(SALU_CYCLE_1)
	s_or_b32 s5, s5, s8
	s_or_b32 exec_lo, exec_lo, s6
	v_mov_b32_e32 v8, s7
	s_and_saveexec_b32 s6, s5
	s_cbranch_execnz .LBB9_323
	s_branch .LBB9_324
.LBB9_668:
	s_trap 2
	s_sendmsg_rtn_b32 s0, sendmsg(MSG_RTN_GET_DOORBELL)
	s_mov_b32 ttmp2, m0
	s_waitcnt lgkmcnt(0)
	s_and_b32 s0, s0, 0x3ff
	s_delay_alu instid0(SALU_CYCLE_1) | instskip(NEXT) | instid1(SALU_CYCLE_1)
	s_bitset1_b32 s0, 10
	s_mov_b32 m0, s0
	s_sendmsg sendmsg(MSG_INTERRUPT)
	s_mov_b32 m0, ttmp2
.LBB9_669:                              ; =>This Inner Loop Header: Depth=1
	s_sethalt 5
	s_branch .LBB9_669
.LBB9_670:
	s_cbranch_execnz .LBB9_803
; %bb.671:
	s_or_b32 s1, s1, exec_lo
	s_cbranch_execz .LBB9_370
	s_branch .LBB9_371
.LBB9_672:
	s_or_saveexec_b32 s3, s3
                                        ; implicit-def: $sgpr4
	s_delay_alu instid0(SALU_CYCLE_1)
	s_xor_b32 exec_lo, exec_lo, s3
	s_cbranch_execz .LBB9_49
.LBB9_673:
	v_add_f32_e64 v3, 0x42800000, |v2|
	s_and_not1_b32 s2, s2, exec_lo
	s_mov_b32 s4, 0
	s_delay_alu instid0(VALU_DEP_1) | instskip(NEXT) | instid1(VALU_DEP_1)
	v_and_b32_e32 v3, 0xff, v3
	v_cmp_ne_u32_e32 vcc_lo, 0, v3
	s_and_b32 s5, vcc_lo, exec_lo
	s_delay_alu instid0(SALU_CYCLE_1)
	s_or_b32 s2, s2, s5
	s_or_b32 exec_lo, exec_lo, s3
	v_mov_b32_e32 v7, s4
	s_and_saveexec_b32 s3, s2
	s_cbranch_execnz .LBB9_50
	s_branch .LBB9_51
.LBB9_674:
	s_mov_b32 s2, -1
	s_mov_b32 s1, 0
	s_mov_b32 s0, s20
.LBB9_675:
	s_and_b32 vcc_lo, exec_lo, s2
	s_cbranch_vccz .LBB9_680
; %bb.676:
	v_cmp_eq_u16_e32 vcc_lo, 44, v6
	s_mov_b32 s0, -1
	s_cbranch_vccz .LBB9_680
; %bb.677:
	v_cvt_f32_f64_e32 v2, v[0:1]
	v_mov_b32_e32 v3, 0xff
	s_mov_b32 s1, exec_lo
	s_delay_alu instid0(VALU_DEP_2) | instskip(NEXT) | instid1(VALU_DEP_1)
	v_bfe_u32 v7, v2, 23, 8
	v_cmpx_ne_u32_e32 0xff, v7
; %bb.678:
	v_and_b32_e32 v3, 0x400000, v2
	v_and_or_b32 v7, 0x3fffff, v2, v7
	v_lshrrev_b32_e32 v2, 23, v2
	s_delay_alu instid0(VALU_DEP_3) | instskip(NEXT) | instid1(VALU_DEP_3)
	v_cmp_ne_u32_e32 vcc_lo, 0, v3
	v_cmp_ne_u32_e64 s0, 0, v7
	s_delay_alu instid0(VALU_DEP_1) | instskip(NEXT) | instid1(SALU_CYCLE_1)
	s_and_b32 s0, vcc_lo, s0
	v_cndmask_b32_e64 v3, 0, 1, s0
	s_delay_alu instid0(VALU_DEP_1)
	v_add_nc_u32_e32 v3, v2, v3
; %bb.679:
	s_or_b32 exec_lo, exec_lo, s1
	s_mov_b32 s1, -1
	s_mov_b32 s0, 0
	global_store_b8 v[4:5], v3, off
.LBB9_680:
	s_mov_b32 s2, 0
.LBB9_681:
	s_delay_alu instid0(SALU_CYCLE_1)
	s_and_b32 vcc_lo, exec_lo, s2
	s_cbranch_vccz .LBB9_684
; %bb.682:
	v_cmp_eq_u16_e32 vcc_lo, 29, v6
	s_mov_b32 s0, -1
	s_cbranch_vccz .LBB9_684
; %bb.683:
	v_trunc_f64_e32 v[2:3], v[0:1]
	s_mov_b32 s1, -1
	s_mov_b32 s0, 0
	s_mov_b32 s2, 0
	s_delay_alu instid0(VALU_DEP_1) | instskip(NEXT) | instid1(VALU_DEP_1)
	v_ldexp_f64 v[7:8], v[2:3], 0xffffffe0
	v_floor_f64_e32 v[7:8], v[7:8]
	s_delay_alu instid0(VALU_DEP_1) | instskip(SKIP_1) | instid1(VALU_DEP_2)
	v_fma_f64 v[2:3], 0xc1f00000, v[7:8], v[2:3]
	v_cvt_u32_f64_e32 v8, v[7:8]
	v_cvt_u32_f64_e32 v7, v[2:3]
	global_store_b64 v[4:5], v[7:8], off
	s_branch .LBB9_685
.LBB9_684:
	s_mov_b32 s2, 0
.LBB9_685:
	s_delay_alu instid0(SALU_CYCLE_1)
	s_and_b32 vcc_lo, exec_lo, s2
	s_cbranch_vccz .LBB9_701
; %bb.686:
	v_cmp_gt_i16_e32 vcc_lo, 27, v6
	s_mov_b32 s1, -1
	s_cbranch_vccnz .LBB9_692
; %bb.687:
	v_cmp_lt_i16_e32 vcc_lo, 27, v6
	s_cbranch_vccz .LBB9_689
; %bb.688:
	v_cvt_u32_f64_e32 v2, v[0:1]
	s_mov_b32 s1, 0
	global_store_b32 v[4:5], v2, off
.LBB9_689:
	s_and_not1_b32 vcc_lo, exec_lo, s1
	s_cbranch_vccnz .LBB9_691
; %bb.690:
	v_cvt_u32_f64_e32 v2, v[0:1]
	global_store_b16 v[4:5], v2, off
.LBB9_691:
	s_mov_b32 s1, 0
.LBB9_692:
	s_delay_alu instid0(SALU_CYCLE_1)
	s_and_not1_b32 vcc_lo, exec_lo, s1
	s_cbranch_vccnz .LBB9_700
; %bb.693:
	v_cvt_f32_f64_e32 v2, v[0:1]
	v_mov_b32_e32 v7, 0x80
	s_mov_b32 s1, exec_lo
	s_delay_alu instid0(VALU_DEP_2) | instskip(NEXT) | instid1(VALU_DEP_1)
	v_and_b32_e32 v3, 0x7fffffff, v2
	v_cmpx_gt_u32_e32 0x43800000, v3
	s_cbranch_execz .LBB9_699
; %bb.694:
	v_cmp_lt_u32_e32 vcc_lo, 0x3bffffff, v3
	s_mov_b32 s2, 0
                                        ; implicit-def: $vgpr3
	s_and_saveexec_b32 s3, vcc_lo
	s_delay_alu instid0(SALU_CYCLE_1)
	s_xor_b32 s3, exec_lo, s3
	s_cbranch_execz .LBB9_796
; %bb.695:
	v_bfe_u32 v3, v2, 20, 1
	s_mov_b32 s2, exec_lo
	s_delay_alu instid0(VALU_DEP_1) | instskip(NEXT) | instid1(VALU_DEP_1)
	v_add3_u32 v3, v2, v3, 0x487ffff
	v_lshrrev_b32_e32 v3, 20, v3
	s_or_saveexec_b32 s3, s3
                                        ; implicit-def: $sgpr4
	s_delay_alu instid0(SALU_CYCLE_1)
	s_xor_b32 exec_lo, exec_lo, s3
	s_cbranch_execnz .LBB9_797
.LBB9_696:
	s_or_b32 exec_lo, exec_lo, s3
	v_mov_b32_e32 v7, s4
	s_and_saveexec_b32 s3, s2
.LBB9_697:
	v_lshrrev_b32_e32 v2, 24, v2
	s_delay_alu instid0(VALU_DEP_1)
	v_and_or_b32 v7, 0x80, v2, v3
.LBB9_698:
	s_or_b32 exec_lo, exec_lo, s3
.LBB9_699:
	s_delay_alu instid0(SALU_CYCLE_1)
	s_or_b32 exec_lo, exec_lo, s1
	global_store_b8 v[4:5], v7, off
.LBB9_700:
	s_mov_b32 s1, -1
.LBB9_701:
	s_mov_b32 s2, 0
.LBB9_702:
	s_delay_alu instid0(SALU_CYCLE_1)
	s_and_b32 vcc_lo, exec_lo, s2
	s_cbranch_vccz .LBB9_743
; %bb.703:
	v_cmp_lt_i16_e32 vcc_lo, 22, v6
	s_mov_b32 s2, -1
	s_cbranch_vccz .LBB9_735
; %bb.704:
	v_cmp_gt_i16_e32 vcc_lo, 24, v6
	s_mov_b32 s1, -1
	s_cbranch_vccnz .LBB9_724
; %bb.705:
	v_cmp_lt_i16_e32 vcc_lo, 24, v6
	s_cbranch_vccz .LBB9_713
; %bb.706:
	v_cvt_f32_f64_e32 v2, v[0:1]
	v_mov_b32_e32 v7, 0x80
	s_mov_b32 s1, exec_lo
	s_delay_alu instid0(VALU_DEP_2) | instskip(NEXT) | instid1(VALU_DEP_1)
	v_and_b32_e32 v3, 0x7fffffff, v2
	v_cmpx_gt_u32_e32 0x47800000, v3
	s_cbranch_execz .LBB9_712
; %bb.707:
	v_cmp_lt_u32_e32 vcc_lo, 0x37ffffff, v3
	s_mov_b32 s2, 0
                                        ; implicit-def: $vgpr3
	s_and_saveexec_b32 s3, vcc_lo
	s_delay_alu instid0(SALU_CYCLE_1)
	s_xor_b32 s3, exec_lo, s3
	s_cbranch_execz .LBB9_807
; %bb.708:
	v_bfe_u32 v3, v2, 21, 1
	s_mov_b32 s2, exec_lo
	s_delay_alu instid0(VALU_DEP_1) | instskip(NEXT) | instid1(VALU_DEP_1)
	v_add3_u32 v3, v2, v3, 0x88fffff
	v_lshrrev_b32_e32 v3, 21, v3
	s_or_saveexec_b32 s3, s3
                                        ; implicit-def: $sgpr4
	s_delay_alu instid0(SALU_CYCLE_1)
	s_xor_b32 exec_lo, exec_lo, s3
	s_cbranch_execnz .LBB9_808
.LBB9_709:
	s_or_b32 exec_lo, exec_lo, s3
	v_mov_b32_e32 v7, s4
	s_and_saveexec_b32 s3, s2
.LBB9_710:
	v_lshrrev_b32_e32 v2, 24, v2
	s_delay_alu instid0(VALU_DEP_1)
	v_and_or_b32 v7, 0x80, v2, v3
.LBB9_711:
	s_or_b32 exec_lo, exec_lo, s3
.LBB9_712:
	s_delay_alu instid0(SALU_CYCLE_1)
	s_or_b32 exec_lo, exec_lo, s1
	s_mov_b32 s1, 0
	global_store_b8 v[4:5], v7, off
.LBB9_713:
	s_and_b32 vcc_lo, exec_lo, s1
	s_cbranch_vccz .LBB9_723
; %bb.714:
	v_cvt_f32_f64_e32 v2, v[0:1]
	s_mov_b32 s1, exec_lo
                                        ; implicit-def: $vgpr3
	s_delay_alu instid0(VALU_DEP_1) | instskip(NEXT) | instid1(VALU_DEP_1)
	v_and_b32_e32 v7, 0x7fffffff, v2
	v_cmpx_gt_u32_e32 0x43f00000, v7
	s_xor_b32 s1, exec_lo, s1
	s_cbranch_execz .LBB9_720
; %bb.715:
	s_mov_b32 s2, exec_lo
                                        ; implicit-def: $vgpr3
	v_cmpx_lt_u32_e32 0x3c7fffff, v7
	s_xor_b32 s2, exec_lo, s2
; %bb.716:
	v_bfe_u32 v3, v2, 20, 1
	s_delay_alu instid0(VALU_DEP_1) | instskip(NEXT) | instid1(VALU_DEP_1)
	v_add3_u32 v3, v2, v3, 0x407ffff
	v_and_b32_e32 v7, 0xff00000, v3
	v_lshrrev_b32_e32 v3, 20, v3
	s_delay_alu instid0(VALU_DEP_2) | instskip(NEXT) | instid1(VALU_DEP_2)
	v_cmp_ne_u32_e32 vcc_lo, 0x7f00000, v7
	v_cndmask_b32_e32 v3, 0x7e, v3, vcc_lo
; %bb.717:
	s_and_not1_saveexec_b32 s2, s2
; %bb.718:
	v_add_f32_e64 v3, 0x46800000, |v2|
; %bb.719:
	s_or_b32 exec_lo, exec_lo, s2
                                        ; implicit-def: $vgpr7
.LBB9_720:
	s_and_not1_saveexec_b32 s1, s1
; %bb.721:
	v_mov_b32_e32 v3, 0x7f
	v_cmp_lt_u32_e32 vcc_lo, 0x7f800000, v7
	s_delay_alu instid0(VALU_DEP_2)
	v_cndmask_b32_e32 v3, 0x7e, v3, vcc_lo
; %bb.722:
	s_or_b32 exec_lo, exec_lo, s1
	v_lshrrev_b32_e32 v2, 24, v2
	s_delay_alu instid0(VALU_DEP_1)
	v_and_or_b32 v2, 0x80, v2, v3
	global_store_b8 v[4:5], v2, off
.LBB9_723:
	s_mov_b32 s1, 0
.LBB9_724:
	s_delay_alu instid0(SALU_CYCLE_1)
	s_and_not1_b32 vcc_lo, exec_lo, s1
	s_cbranch_vccnz .LBB9_734
; %bb.725:
	v_cvt_f32_f64_e32 v2, v[0:1]
	s_mov_b32 s1, exec_lo
                                        ; implicit-def: $vgpr3
	s_delay_alu instid0(VALU_DEP_1) | instskip(NEXT) | instid1(VALU_DEP_1)
	v_and_b32_e32 v7, 0x7fffffff, v2
	v_cmpx_gt_u32_e32 0x47800000, v7
	s_xor_b32 s1, exec_lo, s1
	s_cbranch_execz .LBB9_731
; %bb.726:
	s_mov_b32 s2, exec_lo
                                        ; implicit-def: $vgpr3
	v_cmpx_lt_u32_e32 0x387fffff, v7
	s_xor_b32 s2, exec_lo, s2
; %bb.727:
	v_bfe_u32 v3, v2, 21, 1
	s_delay_alu instid0(VALU_DEP_1) | instskip(NEXT) | instid1(VALU_DEP_1)
	v_add3_u32 v3, v2, v3, 0x80fffff
	v_lshrrev_b32_e32 v3, 21, v3
; %bb.728:
	s_and_not1_saveexec_b32 s2, s2
; %bb.729:
	v_add_f32_e64 v3, 0x43000000, |v2|
; %bb.730:
	s_or_b32 exec_lo, exec_lo, s2
                                        ; implicit-def: $vgpr7
.LBB9_731:
	s_and_not1_saveexec_b32 s1, s1
; %bb.732:
	v_mov_b32_e32 v3, 0x7f
	v_cmp_lt_u32_e32 vcc_lo, 0x7f800000, v7
	s_delay_alu instid0(VALU_DEP_2)
	v_cndmask_b32_e32 v3, 0x7c, v3, vcc_lo
; %bb.733:
	s_or_b32 exec_lo, exec_lo, s1
	v_lshrrev_b32_e32 v2, 24, v2
	s_delay_alu instid0(VALU_DEP_1)
	v_and_or_b32 v2, 0x80, v2, v3
	global_store_b8 v[4:5], v2, off
.LBB9_734:
	s_mov_b32 s2, 0
	s_mov_b32 s1, -1
.LBB9_735:
	s_and_not1_b32 vcc_lo, exec_lo, s2
	s_cbranch_vccnz .LBB9_743
; %bb.736:
	v_cmp_lt_i16_e32 vcc_lo, 14, v6
	s_mov_b32 s2, -1
	s_cbranch_vccz .LBB9_740
; %bb.737:
	v_cmp_eq_u16_e32 vcc_lo, 15, v6
	s_mov_b32 s0, -1
	s_cbranch_vccz .LBB9_739
; %bb.738:
	v_cvt_f32_f64_e32 v2, v[0:1]
	s_mov_b32 s1, -1
	s_mov_b32 s0, 0
	s_delay_alu instid0(VALU_DEP_1) | instskip(SKIP_1) | instid1(VALU_DEP_2)
	v_bfe_u32 v3, v2, 16, 1
	v_cmp_o_f32_e32 vcc_lo, v2, v2
	v_add3_u32 v3, v2, v3, 0x7fff
	s_delay_alu instid0(VALU_DEP_1) | instskip(NEXT) | instid1(VALU_DEP_1)
	v_lshrrev_b32_e32 v3, 16, v3
	v_cndmask_b32_e32 v2, 0x7fc0, v3, vcc_lo
	global_store_b16 v[4:5], v2, off
.LBB9_739:
	s_mov_b32 s2, 0
.LBB9_740:
	s_delay_alu instid0(SALU_CYCLE_1)
	s_and_b32 vcc_lo, exec_lo, s2
	s_cbranch_vccz .LBB9_743
; %bb.741:
	v_cmp_eq_u16_e32 vcc_lo, 11, v6
	s_mov_b32 s0, -1
	s_cbranch_vccz .LBB9_743
; %bb.742:
	v_cmp_neq_f64_e32 vcc_lo, 0, v[0:1]
	s_mov_b32 s1, -1
	s_mov_b32 s0, 0
	v_cndmask_b32_e64 v2, 0, 1, vcc_lo
	global_store_b8 v[4:5], v2, off
.LBB9_743:
	s_branch .LBB9_568
.LBB9_744:
	v_cmp_gt_i16_e32 vcc_lo, 5, v6
	s_mov_b32 s1, -1
	s_cbranch_vccnz .LBB9_765
; %bb.745:
	v_cmp_gt_i16_e32 vcc_lo, 8, v6
	s_cbranch_vccnz .LBB9_755
; %bb.746:
	v_cmp_gt_i16_e32 vcc_lo, 9, v6
	s_cbranch_vccnz .LBB9_752
; %bb.747:
	v_cmp_lt_i16_e32 vcc_lo, 9, v6
	s_cbranch_vccz .LBB9_749
; %bb.748:
	v_mov_b32_e32 v2, 0
	s_mov_b32 s1, 0
	s_delay_alu instid0(VALU_DEP_1)
	v_mov_b32_e32 v3, v2
	global_store_b128 v[4:5], v[0:3], off
.LBB9_749:
	s_and_not1_b32 vcc_lo, exec_lo, s1
	s_cbranch_vccnz .LBB9_751
; %bb.750:
	v_cvt_f32_f64_e32 v2, v[0:1]
	v_mov_b32_e32 v3, 0
	global_store_b64 v[4:5], v[2:3], off
.LBB9_751:
	s_mov_b32 s1, 0
.LBB9_752:
	s_delay_alu instid0(SALU_CYCLE_1)
	s_and_not1_b32 vcc_lo, exec_lo, s1
	s_cbranch_vccnz .LBB9_754
; %bb.753:
	v_cvt_f32_f64_e32 v2, v[0:1]
	s_delay_alu instid0(VALU_DEP_1) | instskip(NEXT) | instid1(VALU_DEP_1)
	v_cvt_f16_f32_e32 v2, v2
	v_and_b32_e32 v2, 0xffff, v2
	global_store_b32 v[4:5], v2, off
.LBB9_754:
	s_mov_b32 s1, 0
.LBB9_755:
	s_delay_alu instid0(SALU_CYCLE_1)
	s_and_not1_b32 vcc_lo, exec_lo, s1
	s_cbranch_vccnz .LBB9_764
; %bb.756:
	v_cmp_gt_i16_e32 vcc_lo, 6, v6
	s_mov_b32 s1, -1
	s_cbranch_vccnz .LBB9_762
; %bb.757:
	v_cmp_lt_i16_e32 vcc_lo, 6, v6
	s_cbranch_vccz .LBB9_759
; %bb.758:
	s_mov_b32 s1, 0
	global_store_b64 v[4:5], v[0:1], off
.LBB9_759:
	s_and_not1_b32 vcc_lo, exec_lo, s1
	s_cbranch_vccnz .LBB9_761
; %bb.760:
	v_cvt_f32_f64_e32 v2, v[0:1]
	global_store_b32 v[4:5], v2, off
.LBB9_761:
	s_mov_b32 s1, 0
.LBB9_762:
	s_delay_alu instid0(SALU_CYCLE_1)
	s_and_not1_b32 vcc_lo, exec_lo, s1
	s_cbranch_vccnz .LBB9_764
; %bb.763:
	v_cvt_f32_f64_e32 v2, v[0:1]
	s_delay_alu instid0(VALU_DEP_1)
	v_cvt_f16_f32_e32 v2, v2
	global_store_b16 v[4:5], v2, off
.LBB9_764:
	s_mov_b32 s1, 0
.LBB9_765:
	s_delay_alu instid0(SALU_CYCLE_1)
	s_and_not1_b32 vcc_lo, exec_lo, s1
	s_cbranch_vccnz .LBB9_781
; %bb.766:
	v_cmp_gt_i16_e32 vcc_lo, 2, v6
	s_mov_b32 s1, -1
	s_cbranch_vccnz .LBB9_776
; %bb.767:
	v_cmp_gt_i16_e32 vcc_lo, 3, v6
	s_cbranch_vccnz .LBB9_773
; %bb.768:
	v_cmp_lt_i16_e32 vcc_lo, 3, v6
	s_cbranch_vccz .LBB9_770
; %bb.769:
	v_trunc_f64_e32 v[2:3], v[0:1]
	s_mov_b32 s1, 0
	s_delay_alu instid0(VALU_DEP_1) | instskip(NEXT) | instid1(VALU_DEP_1)
	v_ldexp_f64 v[7:8], v[2:3], 0xffffffe0
	v_floor_f64_e32 v[7:8], v[7:8]
	s_delay_alu instid0(VALU_DEP_1) | instskip(SKIP_1) | instid1(VALU_DEP_2)
	v_fma_f64 v[2:3], 0xc1f00000, v[7:8], v[2:3]
	v_cvt_i32_f64_e32 v8, v[7:8]
	v_cvt_u32_f64_e32 v7, v[2:3]
	global_store_b64 v[4:5], v[7:8], off
.LBB9_770:
	s_and_not1_b32 vcc_lo, exec_lo, s1
	s_cbranch_vccnz .LBB9_772
; %bb.771:
	v_cvt_i32_f64_e32 v2, v[0:1]
	global_store_b32 v[4:5], v2, off
.LBB9_772:
	s_mov_b32 s1, 0
.LBB9_773:
	s_delay_alu instid0(SALU_CYCLE_1)
	s_and_not1_b32 vcc_lo, exec_lo, s1
	s_cbranch_vccnz .LBB9_775
; %bb.774:
	v_cvt_i32_f64_e32 v2, v[0:1]
	global_store_b16 v[4:5], v2, off
.LBB9_775:
	s_mov_b32 s1, 0
.LBB9_776:
	s_delay_alu instid0(SALU_CYCLE_1)
	s_and_not1_b32 vcc_lo, exec_lo, s1
	s_cbranch_vccnz .LBB9_781
; %bb.777:
	v_cmp_lt_i16_e32 vcc_lo, 0, v6
	s_mov_b32 s1, -1
	s_cbranch_vccz .LBB9_779
; %bb.778:
	v_cvt_i32_f64_e32 v2, v[0:1]
	s_mov_b32 s1, 0
	global_store_b8 v[4:5], v2, off
.LBB9_779:
	s_and_not1_b32 vcc_lo, exec_lo, s1
	s_cbranch_vccnz .LBB9_781
; %bb.780:
	v_trunc_f64_e32 v[0:1], v[0:1]
	s_delay_alu instid0(VALU_DEP_1) | instskip(NEXT) | instid1(VALU_DEP_1)
	v_ldexp_f64 v[2:3], v[0:1], 0xffffffe0
	v_floor_f64_e32 v[2:3], v[2:3]
	s_delay_alu instid0(VALU_DEP_1) | instskip(NEXT) | instid1(VALU_DEP_1)
	v_fma_f64 v[0:1], 0xc1f00000, v[2:3], v[0:1]
	v_cvt_u32_f64_e32 v0, v[0:1]
	global_store_b8 v[4:5], v0, off
.LBB9_781:
	s_branch .LBB9_569
.LBB9_782:
	s_mov_b32 s1, 0
                                        ; implicit-def: $vgpr34
.LBB9_783:
	s_and_not1_b32 s2, s20, exec_lo
	s_and_b32 s0, s0, exec_lo
	s_delay_alu instid0(SALU_CYCLE_1)
	s_or_b32 s23, s2, s0
	s_or_not1_b32 s2, s1, exec_lo
.LBB9_784:
	s_or_b32 exec_lo, exec_lo, s24
	s_mov_b32 s0, 0
	s_mov_b32 s1, 0
                                        ; implicit-def: $vgpr6
                                        ; implicit-def: $vgpr4_vgpr5
                                        ; implicit-def: $vgpr0_vgpr1
	s_and_saveexec_b32 s24, s2
	s_cbranch_execz .LBB9_1019
; %bb.785:
	s_mov_b32 s2, -1
	s_mov_b32 s26, s23
	s_mov_b32 s25, exec_lo
	v_cmpx_gt_i32_e64 s21, v34
	s_cbranch_execz .LBB9_922
; %bb.786:
	v_dual_mov_b32 v0, s18 :: v_dual_mov_b32 v1, s19
	v_dual_mov_b32 v2, s13 :: v_dual_mov_b32 v3, v35
	v_mov_b32_e32 v4, v34
	s_getpc_b64 s[0:1]
	s_add_u32 s0, s0, _ZN2at6native6invokeIZZZNS0_12_GLOBAL__N_130modified_bessel_k0_kernel_cudaERNS_18TensorIteratorBaseEENKUlvE_clEvENKUlvE_clEvEUldE_i15function_traitsIS7_EEENT1_11result_typeERKT_PrKPcPKT0_PKN3c1010ScalarTypeEi@rel32@lo+4
	s_addc_u32 s1, s1, _ZN2at6native6invokeIZZZNS0_12_GLOBAL__N_130modified_bessel_k0_kernel_cudaERNS_18TensorIteratorBaseEENKUlvE_clEvENKUlvE_clEvEUldE_i15function_traitsIS7_EEENT1_11result_typeERKT_PrKPcPKT0_PKN3c1010ScalarTypeEi@rel32@hi+12
	s_delay_alu instid0(SALU_CYCLE_1) | instskip(SKIP_2) | instid1(VALU_DEP_1)
	s_swappc_b64 s[30:31], s[0:1]
	v_mul_lo_u32 v2, v34, s12
	v_and_b32_e32 v6, 0xff, v37
	v_cmp_gt_i16_e32 vcc_lo, 11, v6
	s_delay_alu instid0(VALU_DEP_3) | instskip(SKIP_1) | instid1(VALU_DEP_1)
	v_ashrrev_i32_e32 v3, 31, v2
	v_add_co_u32 v4, s0, s16, v2
	v_add_co_ci_u32_e64 v5, s0, s17, v3, s0
	s_cbranch_vccnz .LBB9_793
; %bb.787:
	v_cmp_lt_i16_e32 vcc_lo, 25, v6
	s_cbranch_vccz .LBB9_794
; %bb.788:
	v_cmp_lt_i16_e32 vcc_lo, 28, v6
	s_cbranch_vccz .LBB9_795
	;; [unrolled: 3-line block ×4, first 2 shown]
; %bb.791:
	v_cmp_eq_u16_e32 vcc_lo, 46, v6
	s_mov_b32 s2, 0
	s_mov_b32 s0, -1
	s_mov_b32 s1, 0
	s_cbranch_vccz .LBB9_810
; %bb.792:
	v_cvt_f32_f64_e32 v2, v[0:1]
	s_mov_b32 s1, -1
	s_mov_b32 s0, 0
	s_delay_alu instid0(VALU_DEP_1) | instskip(SKIP_1) | instid1(VALU_DEP_2)
	v_bfe_u32 v3, v2, 16, 1
	v_cmp_o_f32_e32 vcc_lo, v2, v2
	v_add3_u32 v3, v2, v3, 0x7fff
	s_delay_alu instid0(VALU_DEP_1) | instskip(NEXT) | instid1(VALU_DEP_1)
	v_lshrrev_b32_e32 v3, 16, v3
	v_cndmask_b32_e32 v2, 0x7fc0, v3, vcc_lo
	global_store_b32 v[4:5], v2, off
	s_branch .LBB9_810
.LBB9_793:
	s_mov_b32 s2, -1
	s_mov_b32 s1, 0
	s_mov_b32 s0, s23
	s_branch .LBB9_879
.LBB9_794:
	s_mov_b32 s2, -1
	s_mov_b32 s1, 0
	s_mov_b32 s0, s23
	s_branch .LBB9_837
.LBB9_795:
	s_mov_b32 s2, -1
	s_mov_b32 s1, 0
	s_mov_b32 s0, s23
	s_branch .LBB9_820
.LBB9_796:
	s_or_saveexec_b32 s3, s3
                                        ; implicit-def: $sgpr4
	s_delay_alu instid0(SALU_CYCLE_1)
	s_xor_b32 exec_lo, exec_lo, s3
	s_cbranch_execz .LBB9_696
.LBB9_797:
	v_add_f32_e64 v3, 0x46000000, |v2|
	s_and_not1_b32 s2, s2, exec_lo
	s_mov_b32 s4, 0
	s_delay_alu instid0(VALU_DEP_1) | instskip(NEXT) | instid1(VALU_DEP_1)
	v_and_b32_e32 v3, 0xff, v3
	v_cmp_ne_u32_e32 vcc_lo, 0, v3
	s_and_b32 s5, vcc_lo, exec_lo
	s_delay_alu instid0(SALU_CYCLE_1)
	s_or_b32 s2, s2, s5
	s_or_b32 exec_lo, exec_lo, s3
	v_mov_b32_e32 v7, s4
	s_and_saveexec_b32 s3, s2
	s_cbranch_execnz .LBB9_697
	s_branch .LBB9_698
.LBB9_798:
	s_mov_b32 s2, -1
	s_mov_b32 s1, 0
	s_mov_b32 s0, s23
	s_branch .LBB9_816
.LBB9_799:
	s_or_saveexec_b32 s5, s5
                                        ; implicit-def: $sgpr6
	s_delay_alu instid0(SALU_CYCLE_1)
	s_xor_b32 exec_lo, exec_lo, s5
	s_cbranch_execz .LBB9_335
.LBB9_800:
	v_add_f32_e64 v7, 0x42800000, |v5|
	s_and_not1_b32 s4, s4, exec_lo
	s_mov_b32 s6, 0
	s_delay_alu instid0(VALU_DEP_1) | instskip(NEXT) | instid1(VALU_DEP_1)
	v_and_b32_e32 v7, 0xff, v7
	v_cmp_ne_u32_e32 vcc_lo, 0, v7
	s_and_b32 s7, vcc_lo, exec_lo
	s_delay_alu instid0(SALU_CYCLE_1)
	s_or_b32 s4, s4, s7
	s_or_b32 exec_lo, exec_lo, s5
	v_mov_b32_e32 v8, s6
	s_and_saveexec_b32 s5, s4
	s_cbranch_execnz .LBB9_336
	s_branch .LBB9_337
.LBB9_801:
	s_or_saveexec_b32 s6, s6
                                        ; implicit-def: $sgpr7
	s_delay_alu instid0(SALU_CYCLE_1)
	s_xor_b32 exec_lo, exec_lo, s6
	s_cbranch_execz .LBB9_440
.LBB9_802:
	v_add_f32_e64 v7, 0x46000000, |v5|
	s_and_not1_b32 s5, s5, exec_lo
	s_mov_b32 s7, 0
	s_delay_alu instid0(VALU_DEP_1) | instskip(NEXT) | instid1(VALU_DEP_1)
	v_and_b32_e32 v7, 0xff, v7
	v_cmp_ne_u32_e32 vcc_lo, 0, v7
	s_and_b32 s8, vcc_lo, exec_lo
	s_delay_alu instid0(SALU_CYCLE_1)
	s_or_b32 s5, s5, s8
	s_or_b32 exec_lo, exec_lo, s6
	v_mov_b32_e32 v8, s7
	s_and_saveexec_b32 s6, s5
	s_cbranch_execnz .LBB9_441
	s_branch .LBB9_442
.LBB9_803:
	s_trap 2
	s_sendmsg_rtn_b32 s0, sendmsg(MSG_RTN_GET_DOORBELL)
	s_mov_b32 ttmp2, m0
	s_waitcnt lgkmcnt(0)
	s_and_b32 s0, s0, 0x3ff
	s_delay_alu instid0(SALU_CYCLE_1) | instskip(NEXT) | instid1(SALU_CYCLE_1)
	s_bitset1_b32 s0, 10
	s_mov_b32 m0, s0
	s_sendmsg sendmsg(MSG_INTERRUPT)
	s_mov_b32 m0, ttmp2
.LBB9_804:                              ; =>This Inner Loop Header: Depth=1
	s_sethalt 5
	s_branch .LBB9_804
.LBB9_805:
	s_cbranch_execnz .LBB9_938
; %bb.806:
	s_or_b32 s1, s1, exec_lo
	s_cbranch_execz .LBB9_488
	s_branch .LBB9_489
.LBB9_807:
	s_or_saveexec_b32 s3, s3
                                        ; implicit-def: $sgpr4
	s_delay_alu instid0(SALU_CYCLE_1)
	s_xor_b32 exec_lo, exec_lo, s3
	s_cbranch_execz .LBB9_709
.LBB9_808:
	v_add_f32_e64 v3, 0x42800000, |v2|
	s_and_not1_b32 s2, s2, exec_lo
	s_mov_b32 s4, 0
	s_delay_alu instid0(VALU_DEP_1) | instskip(NEXT) | instid1(VALU_DEP_1)
	v_and_b32_e32 v3, 0xff, v3
	v_cmp_ne_u32_e32 vcc_lo, 0, v3
	s_and_b32 s5, vcc_lo, exec_lo
	s_delay_alu instid0(SALU_CYCLE_1)
	s_or_b32 s2, s2, s5
	s_or_b32 exec_lo, exec_lo, s3
	v_mov_b32_e32 v7, s4
	s_and_saveexec_b32 s3, s2
	s_cbranch_execnz .LBB9_710
	s_branch .LBB9_711
.LBB9_809:
	s_mov_b32 s2, -1
	s_mov_b32 s1, 0
	s_mov_b32 s0, s23
.LBB9_810:
	s_and_b32 vcc_lo, exec_lo, s2
	s_cbranch_vccz .LBB9_815
; %bb.811:
	v_cmp_eq_u16_e32 vcc_lo, 44, v6
	s_mov_b32 s0, -1
	s_cbranch_vccz .LBB9_815
; %bb.812:
	v_cvt_f32_f64_e32 v2, v[0:1]
	v_mov_b32_e32 v3, 0xff
	s_mov_b32 s1, exec_lo
	s_delay_alu instid0(VALU_DEP_2) | instskip(NEXT) | instid1(VALU_DEP_1)
	v_bfe_u32 v7, v2, 23, 8
	v_cmpx_ne_u32_e32 0xff, v7
; %bb.813:
	v_and_b32_e32 v3, 0x400000, v2
	v_and_or_b32 v7, 0x3fffff, v2, v7
	v_lshrrev_b32_e32 v2, 23, v2
	s_delay_alu instid0(VALU_DEP_3) | instskip(NEXT) | instid1(VALU_DEP_3)
	v_cmp_ne_u32_e32 vcc_lo, 0, v3
	v_cmp_ne_u32_e64 s0, 0, v7
	s_delay_alu instid0(VALU_DEP_1) | instskip(NEXT) | instid1(SALU_CYCLE_1)
	s_and_b32 s0, vcc_lo, s0
	v_cndmask_b32_e64 v3, 0, 1, s0
	s_delay_alu instid0(VALU_DEP_1)
	v_add_nc_u32_e32 v3, v2, v3
; %bb.814:
	s_or_b32 exec_lo, exec_lo, s1
	s_mov_b32 s1, -1
	s_mov_b32 s0, 0
	global_store_b8 v[4:5], v3, off
.LBB9_815:
	s_mov_b32 s2, 0
.LBB9_816:
	s_delay_alu instid0(SALU_CYCLE_1)
	s_and_b32 vcc_lo, exec_lo, s2
	s_cbranch_vccz .LBB9_819
; %bb.817:
	v_cmp_eq_u16_e32 vcc_lo, 29, v6
	s_mov_b32 s0, -1
	s_cbranch_vccz .LBB9_819
; %bb.818:
	v_trunc_f64_e32 v[2:3], v[0:1]
	s_mov_b32 s1, -1
	s_mov_b32 s0, 0
	s_mov_b32 s2, 0
	s_delay_alu instid0(VALU_DEP_1) | instskip(NEXT) | instid1(VALU_DEP_1)
	v_ldexp_f64 v[7:8], v[2:3], 0xffffffe0
	v_floor_f64_e32 v[7:8], v[7:8]
	s_delay_alu instid0(VALU_DEP_1) | instskip(SKIP_1) | instid1(VALU_DEP_2)
	v_fma_f64 v[2:3], 0xc1f00000, v[7:8], v[2:3]
	v_cvt_u32_f64_e32 v8, v[7:8]
	v_cvt_u32_f64_e32 v7, v[2:3]
	global_store_b64 v[4:5], v[7:8], off
	s_branch .LBB9_820
.LBB9_819:
	s_mov_b32 s2, 0
.LBB9_820:
	s_delay_alu instid0(SALU_CYCLE_1)
	s_and_b32 vcc_lo, exec_lo, s2
	s_cbranch_vccz .LBB9_836
; %bb.821:
	v_cmp_gt_i16_e32 vcc_lo, 27, v6
	s_mov_b32 s1, -1
	s_cbranch_vccnz .LBB9_827
; %bb.822:
	v_cmp_lt_i16_e32 vcc_lo, 27, v6
	s_cbranch_vccz .LBB9_824
; %bb.823:
	v_cvt_u32_f64_e32 v2, v[0:1]
	s_mov_b32 s1, 0
	global_store_b32 v[4:5], v2, off
.LBB9_824:
	s_and_not1_b32 vcc_lo, exec_lo, s1
	s_cbranch_vccnz .LBB9_826
; %bb.825:
	v_cvt_u32_f64_e32 v2, v[0:1]
	global_store_b16 v[4:5], v2, off
.LBB9_826:
	s_mov_b32 s1, 0
.LBB9_827:
	s_delay_alu instid0(SALU_CYCLE_1)
	s_and_not1_b32 vcc_lo, exec_lo, s1
	s_cbranch_vccnz .LBB9_835
; %bb.828:
	v_cvt_f32_f64_e32 v2, v[0:1]
	v_mov_b32_e32 v7, 0x80
	s_mov_b32 s1, exec_lo
	s_delay_alu instid0(VALU_DEP_2) | instskip(NEXT) | instid1(VALU_DEP_1)
	v_and_b32_e32 v3, 0x7fffffff, v2
	v_cmpx_gt_u32_e32 0x43800000, v3
	s_cbranch_execz .LBB9_834
; %bb.829:
	v_cmp_lt_u32_e32 vcc_lo, 0x3bffffff, v3
	s_mov_b32 s2, 0
                                        ; implicit-def: $vgpr3
	s_and_saveexec_b32 s3, vcc_lo
	s_delay_alu instid0(SALU_CYCLE_1)
	s_xor_b32 s3, exec_lo, s3
	s_cbranch_execz .LBB9_932
; %bb.830:
	v_bfe_u32 v3, v2, 20, 1
	s_mov_b32 s2, exec_lo
	s_delay_alu instid0(VALU_DEP_1) | instskip(NEXT) | instid1(VALU_DEP_1)
	v_add3_u32 v3, v2, v3, 0x487ffff
	v_lshrrev_b32_e32 v3, 20, v3
	s_or_saveexec_b32 s3, s3
                                        ; implicit-def: $sgpr4
	s_delay_alu instid0(SALU_CYCLE_1)
	s_xor_b32 exec_lo, exec_lo, s3
	s_cbranch_execnz .LBB9_933
.LBB9_831:
	s_or_b32 exec_lo, exec_lo, s3
	v_mov_b32_e32 v7, s4
	s_and_saveexec_b32 s3, s2
.LBB9_832:
	v_lshrrev_b32_e32 v2, 24, v2
	s_delay_alu instid0(VALU_DEP_1)
	v_and_or_b32 v7, 0x80, v2, v3
.LBB9_833:
	s_or_b32 exec_lo, exec_lo, s3
.LBB9_834:
	s_delay_alu instid0(SALU_CYCLE_1)
	s_or_b32 exec_lo, exec_lo, s1
	global_store_b8 v[4:5], v7, off
.LBB9_835:
	s_mov_b32 s1, -1
.LBB9_836:
	s_mov_b32 s2, 0
.LBB9_837:
	s_delay_alu instid0(SALU_CYCLE_1)
	s_and_b32 vcc_lo, exec_lo, s2
	s_cbranch_vccz .LBB9_878
; %bb.838:
	v_cmp_lt_i16_e32 vcc_lo, 22, v6
	s_mov_b32 s2, -1
	s_cbranch_vccz .LBB9_870
; %bb.839:
	v_cmp_gt_i16_e32 vcc_lo, 24, v6
	s_mov_b32 s1, -1
	s_cbranch_vccnz .LBB9_859
; %bb.840:
	v_cmp_lt_i16_e32 vcc_lo, 24, v6
	s_cbranch_vccz .LBB9_848
; %bb.841:
	v_cvt_f32_f64_e32 v2, v[0:1]
	v_mov_b32_e32 v7, 0x80
	s_mov_b32 s1, exec_lo
	s_delay_alu instid0(VALU_DEP_2) | instskip(NEXT) | instid1(VALU_DEP_1)
	v_and_b32_e32 v3, 0x7fffffff, v2
	v_cmpx_gt_u32_e32 0x47800000, v3
	s_cbranch_execz .LBB9_847
; %bb.842:
	v_cmp_lt_u32_e32 vcc_lo, 0x37ffffff, v3
	s_mov_b32 s2, 0
                                        ; implicit-def: $vgpr3
	s_and_saveexec_b32 s3, vcc_lo
	s_delay_alu instid0(SALU_CYCLE_1)
	s_xor_b32 s3, exec_lo, s3
	s_cbranch_execz .LBB9_942
; %bb.843:
	v_bfe_u32 v3, v2, 21, 1
	s_mov_b32 s2, exec_lo
	s_delay_alu instid0(VALU_DEP_1) | instskip(NEXT) | instid1(VALU_DEP_1)
	v_add3_u32 v3, v2, v3, 0x88fffff
	v_lshrrev_b32_e32 v3, 21, v3
	s_or_saveexec_b32 s3, s3
                                        ; implicit-def: $sgpr4
	s_delay_alu instid0(SALU_CYCLE_1)
	s_xor_b32 exec_lo, exec_lo, s3
	s_cbranch_execnz .LBB9_943
.LBB9_844:
	s_or_b32 exec_lo, exec_lo, s3
	v_mov_b32_e32 v7, s4
	s_and_saveexec_b32 s3, s2
.LBB9_845:
	v_lshrrev_b32_e32 v2, 24, v2
	s_delay_alu instid0(VALU_DEP_1)
	v_and_or_b32 v7, 0x80, v2, v3
.LBB9_846:
	s_or_b32 exec_lo, exec_lo, s3
.LBB9_847:
	s_delay_alu instid0(SALU_CYCLE_1)
	s_or_b32 exec_lo, exec_lo, s1
	s_mov_b32 s1, 0
	global_store_b8 v[4:5], v7, off
.LBB9_848:
	s_and_b32 vcc_lo, exec_lo, s1
	s_cbranch_vccz .LBB9_858
; %bb.849:
	v_cvt_f32_f64_e32 v2, v[0:1]
	s_mov_b32 s1, exec_lo
                                        ; implicit-def: $vgpr3
	s_delay_alu instid0(VALU_DEP_1) | instskip(NEXT) | instid1(VALU_DEP_1)
	v_and_b32_e32 v7, 0x7fffffff, v2
	v_cmpx_gt_u32_e32 0x43f00000, v7
	s_xor_b32 s1, exec_lo, s1
	s_cbranch_execz .LBB9_855
; %bb.850:
	s_mov_b32 s2, exec_lo
                                        ; implicit-def: $vgpr3
	v_cmpx_lt_u32_e32 0x3c7fffff, v7
	s_xor_b32 s2, exec_lo, s2
; %bb.851:
	v_bfe_u32 v3, v2, 20, 1
	s_delay_alu instid0(VALU_DEP_1) | instskip(NEXT) | instid1(VALU_DEP_1)
	v_add3_u32 v3, v2, v3, 0x407ffff
	v_and_b32_e32 v7, 0xff00000, v3
	v_lshrrev_b32_e32 v3, 20, v3
	s_delay_alu instid0(VALU_DEP_2) | instskip(NEXT) | instid1(VALU_DEP_2)
	v_cmp_ne_u32_e32 vcc_lo, 0x7f00000, v7
	v_cndmask_b32_e32 v3, 0x7e, v3, vcc_lo
; %bb.852:
	s_and_not1_saveexec_b32 s2, s2
; %bb.853:
	v_add_f32_e64 v3, 0x46800000, |v2|
; %bb.854:
	s_or_b32 exec_lo, exec_lo, s2
                                        ; implicit-def: $vgpr7
.LBB9_855:
	s_and_not1_saveexec_b32 s1, s1
; %bb.856:
	v_mov_b32_e32 v3, 0x7f
	v_cmp_lt_u32_e32 vcc_lo, 0x7f800000, v7
	s_delay_alu instid0(VALU_DEP_2)
	v_cndmask_b32_e32 v3, 0x7e, v3, vcc_lo
; %bb.857:
	s_or_b32 exec_lo, exec_lo, s1
	v_lshrrev_b32_e32 v2, 24, v2
	s_delay_alu instid0(VALU_DEP_1)
	v_and_or_b32 v2, 0x80, v2, v3
	global_store_b8 v[4:5], v2, off
.LBB9_858:
	s_mov_b32 s1, 0
.LBB9_859:
	s_delay_alu instid0(SALU_CYCLE_1)
	s_and_not1_b32 vcc_lo, exec_lo, s1
	s_cbranch_vccnz .LBB9_869
; %bb.860:
	v_cvt_f32_f64_e32 v2, v[0:1]
	s_mov_b32 s1, exec_lo
                                        ; implicit-def: $vgpr3
	s_delay_alu instid0(VALU_DEP_1) | instskip(NEXT) | instid1(VALU_DEP_1)
	v_and_b32_e32 v7, 0x7fffffff, v2
	v_cmpx_gt_u32_e32 0x47800000, v7
	s_xor_b32 s1, exec_lo, s1
	s_cbranch_execz .LBB9_866
; %bb.861:
	s_mov_b32 s2, exec_lo
                                        ; implicit-def: $vgpr3
	v_cmpx_lt_u32_e32 0x387fffff, v7
	s_xor_b32 s2, exec_lo, s2
; %bb.862:
	v_bfe_u32 v3, v2, 21, 1
	s_delay_alu instid0(VALU_DEP_1) | instskip(NEXT) | instid1(VALU_DEP_1)
	v_add3_u32 v3, v2, v3, 0x80fffff
	v_lshrrev_b32_e32 v3, 21, v3
; %bb.863:
	s_and_not1_saveexec_b32 s2, s2
; %bb.864:
	v_add_f32_e64 v3, 0x43000000, |v2|
; %bb.865:
	s_or_b32 exec_lo, exec_lo, s2
                                        ; implicit-def: $vgpr7
.LBB9_866:
	s_and_not1_saveexec_b32 s1, s1
; %bb.867:
	v_mov_b32_e32 v3, 0x7f
	v_cmp_lt_u32_e32 vcc_lo, 0x7f800000, v7
	s_delay_alu instid0(VALU_DEP_2)
	v_cndmask_b32_e32 v3, 0x7c, v3, vcc_lo
; %bb.868:
	s_or_b32 exec_lo, exec_lo, s1
	v_lshrrev_b32_e32 v2, 24, v2
	s_delay_alu instid0(VALU_DEP_1)
	v_and_or_b32 v2, 0x80, v2, v3
	global_store_b8 v[4:5], v2, off
.LBB9_869:
	s_mov_b32 s2, 0
	s_mov_b32 s1, -1
.LBB9_870:
	s_and_not1_b32 vcc_lo, exec_lo, s2
	s_cbranch_vccnz .LBB9_878
; %bb.871:
	v_cmp_lt_i16_e32 vcc_lo, 14, v6
	s_mov_b32 s2, -1
	s_cbranch_vccz .LBB9_875
; %bb.872:
	v_cmp_eq_u16_e32 vcc_lo, 15, v6
	s_mov_b32 s0, -1
	s_cbranch_vccz .LBB9_874
; %bb.873:
	v_cvt_f32_f64_e32 v2, v[0:1]
	s_mov_b32 s1, -1
	s_mov_b32 s0, 0
	s_delay_alu instid0(VALU_DEP_1) | instskip(SKIP_1) | instid1(VALU_DEP_2)
	v_bfe_u32 v3, v2, 16, 1
	v_cmp_o_f32_e32 vcc_lo, v2, v2
	v_add3_u32 v3, v2, v3, 0x7fff
	s_delay_alu instid0(VALU_DEP_1) | instskip(NEXT) | instid1(VALU_DEP_1)
	v_lshrrev_b32_e32 v3, 16, v3
	v_cndmask_b32_e32 v2, 0x7fc0, v3, vcc_lo
	global_store_b16 v[4:5], v2, off
.LBB9_874:
	s_mov_b32 s2, 0
.LBB9_875:
	s_delay_alu instid0(SALU_CYCLE_1)
	s_and_b32 vcc_lo, exec_lo, s2
	s_cbranch_vccz .LBB9_878
; %bb.876:
	v_cmp_eq_u16_e32 vcc_lo, 11, v6
	s_mov_b32 s0, -1
	s_cbranch_vccz .LBB9_878
; %bb.877:
	v_cmp_neq_f64_e32 vcc_lo, 0, v[0:1]
	s_mov_b32 s1, -1
	s_mov_b32 s0, 0
	v_cndmask_b32_e64 v2, 0, 1, vcc_lo
	global_store_b8 v[4:5], v2, off
.LBB9_878:
	s_mov_b32 s2, 0
.LBB9_879:
	s_delay_alu instid0(SALU_CYCLE_1)
	s_and_b32 vcc_lo, exec_lo, s2
	s_cbranch_vccz .LBB9_918
; %bb.880:
	v_cmp_gt_i16_e32 vcc_lo, 5, v6
	s_mov_b32 s1, -1
	s_cbranch_vccnz .LBB9_901
; %bb.881:
	v_cmp_gt_i16_e32 vcc_lo, 8, v6
	s_cbranch_vccnz .LBB9_891
; %bb.882:
	v_cmp_gt_i16_e32 vcc_lo, 9, v6
	s_cbranch_vccnz .LBB9_888
; %bb.883:
	v_cmp_lt_i16_e32 vcc_lo, 9, v6
	s_cbranch_vccz .LBB9_885
; %bb.884:
	v_mov_b32_e32 v2, 0
	s_mov_b32 s1, 0
	s_delay_alu instid0(VALU_DEP_1)
	v_mov_b32_e32 v3, v2
	global_store_b128 v[4:5], v[0:3], off
.LBB9_885:
	s_and_not1_b32 vcc_lo, exec_lo, s1
	s_cbranch_vccnz .LBB9_887
; %bb.886:
	v_cvt_f32_f64_e32 v2, v[0:1]
	v_mov_b32_e32 v3, 0
	global_store_b64 v[4:5], v[2:3], off
.LBB9_887:
	s_mov_b32 s1, 0
.LBB9_888:
	s_delay_alu instid0(SALU_CYCLE_1)
	s_and_not1_b32 vcc_lo, exec_lo, s1
	s_cbranch_vccnz .LBB9_890
; %bb.889:
	v_cvt_f32_f64_e32 v2, v[0:1]
	s_delay_alu instid0(VALU_DEP_1) | instskip(NEXT) | instid1(VALU_DEP_1)
	v_cvt_f16_f32_e32 v2, v2
	v_and_b32_e32 v2, 0xffff, v2
	global_store_b32 v[4:5], v2, off
.LBB9_890:
	s_mov_b32 s1, 0
.LBB9_891:
	s_delay_alu instid0(SALU_CYCLE_1)
	s_and_not1_b32 vcc_lo, exec_lo, s1
	s_cbranch_vccnz .LBB9_900
; %bb.892:
	v_cmp_gt_i16_e32 vcc_lo, 6, v6
	s_mov_b32 s1, -1
	s_cbranch_vccnz .LBB9_898
; %bb.893:
	v_cmp_lt_i16_e32 vcc_lo, 6, v6
	s_cbranch_vccz .LBB9_895
; %bb.894:
	s_mov_b32 s1, 0
	global_store_b64 v[4:5], v[0:1], off
.LBB9_895:
	s_and_not1_b32 vcc_lo, exec_lo, s1
	s_cbranch_vccnz .LBB9_897
; %bb.896:
	v_cvt_f32_f64_e32 v2, v[0:1]
	global_store_b32 v[4:5], v2, off
.LBB9_897:
	s_mov_b32 s1, 0
.LBB9_898:
	s_delay_alu instid0(SALU_CYCLE_1)
	s_and_not1_b32 vcc_lo, exec_lo, s1
	s_cbranch_vccnz .LBB9_900
; %bb.899:
	v_cvt_f32_f64_e32 v2, v[0:1]
	s_delay_alu instid0(VALU_DEP_1)
	v_cvt_f16_f32_e32 v2, v2
	global_store_b16 v[4:5], v2, off
.LBB9_900:
	s_mov_b32 s1, 0
.LBB9_901:
	s_delay_alu instid0(SALU_CYCLE_1)
	s_and_not1_b32 vcc_lo, exec_lo, s1
	s_cbranch_vccnz .LBB9_917
; %bb.902:
	v_cmp_gt_i16_e32 vcc_lo, 2, v6
	s_mov_b32 s1, -1
	s_cbranch_vccnz .LBB9_912
; %bb.903:
	v_cmp_gt_i16_e32 vcc_lo, 3, v6
	s_cbranch_vccnz .LBB9_909
; %bb.904:
	v_cmp_lt_i16_e32 vcc_lo, 3, v6
	s_cbranch_vccz .LBB9_906
; %bb.905:
	v_trunc_f64_e32 v[2:3], v[0:1]
	s_mov_b32 s1, 0
	s_delay_alu instid0(VALU_DEP_1) | instskip(NEXT) | instid1(VALU_DEP_1)
	v_ldexp_f64 v[7:8], v[2:3], 0xffffffe0
	v_floor_f64_e32 v[7:8], v[7:8]
	s_delay_alu instid0(VALU_DEP_1) | instskip(SKIP_1) | instid1(VALU_DEP_2)
	v_fma_f64 v[2:3], 0xc1f00000, v[7:8], v[2:3]
	v_cvt_i32_f64_e32 v8, v[7:8]
	v_cvt_u32_f64_e32 v7, v[2:3]
	global_store_b64 v[4:5], v[7:8], off
.LBB9_906:
	s_and_not1_b32 vcc_lo, exec_lo, s1
	s_cbranch_vccnz .LBB9_908
; %bb.907:
	v_cvt_i32_f64_e32 v2, v[0:1]
	global_store_b32 v[4:5], v2, off
.LBB9_908:
	s_mov_b32 s1, 0
.LBB9_909:
	s_delay_alu instid0(SALU_CYCLE_1)
	s_and_not1_b32 vcc_lo, exec_lo, s1
	s_cbranch_vccnz .LBB9_911
; %bb.910:
	v_cvt_i32_f64_e32 v2, v[0:1]
	global_store_b16 v[4:5], v2, off
.LBB9_911:
	s_mov_b32 s1, 0
.LBB9_912:
	s_delay_alu instid0(SALU_CYCLE_1)
	s_and_not1_b32 vcc_lo, exec_lo, s1
	s_cbranch_vccnz .LBB9_917
; %bb.913:
	v_cmp_lt_i16_e32 vcc_lo, 0, v6
	s_mov_b32 s1, -1
	s_cbranch_vccz .LBB9_915
; %bb.914:
	v_cvt_i32_f64_e32 v2, v[0:1]
	s_mov_b32 s1, 0
	global_store_b8 v[4:5], v2, off
.LBB9_915:
	s_and_not1_b32 vcc_lo, exec_lo, s1
	s_cbranch_vccnz .LBB9_917
; %bb.916:
	v_trunc_f64_e32 v[0:1], v[0:1]
	s_delay_alu instid0(VALU_DEP_1) | instskip(NEXT) | instid1(VALU_DEP_1)
	v_ldexp_f64 v[2:3], v[0:1], 0xffffffe0
	v_floor_f64_e32 v[2:3], v[2:3]
	s_delay_alu instid0(VALU_DEP_1) | instskip(NEXT) | instid1(VALU_DEP_1)
	v_fma_f64 v[0:1], 0xc1f00000, v[2:3], v[0:1]
	v_cvt_u32_f64_e32 v0, v[0:1]
	global_store_b8 v[4:5], v0, off
.LBB9_917:
	s_mov_b32 s1, -1
.LBB9_918:
	s_delay_alu instid0(SALU_CYCLE_1)
	s_and_not1_b32 vcc_lo, exec_lo, s1
	s_cbranch_vccnz .LBB9_920
; %bb.919:
	v_add_nc_u32_e32 v34, 0x80, v34
	s_mov_b32 s1, -1
	s_branch .LBB9_921
.LBB9_920:
	s_mov_b32 s1, 0
                                        ; implicit-def: $vgpr34
.LBB9_921:
	s_and_not1_b32 s2, s23, exec_lo
	s_and_b32 s0, s0, exec_lo
	s_delay_alu instid0(SALU_CYCLE_1)
	s_or_b32 s26, s2, s0
	s_or_not1_b32 s2, s1, exec_lo
.LBB9_922:
	s_or_b32 exec_lo, exec_lo, s25
	s_mov_b32 s0, 0
	s_mov_b32 s1, 0
                                        ; implicit-def: $vgpr6
                                        ; implicit-def: $vgpr4_vgpr5
                                        ; implicit-def: $vgpr0_vgpr1
	s_and_saveexec_b32 s25, s2
	s_cbranch_execz .LBB9_1018
; %bb.923:
	v_cmp_gt_i32_e32 vcc_lo, s21, v34
	s_mov_b32 s2, s26
                                        ; implicit-def: $vgpr6
                                        ; implicit-def: $vgpr4_vgpr5
                                        ; implicit-def: $vgpr0_vgpr1
	s_and_saveexec_b32 s21, vcc_lo
	s_cbranch_execz .LBB9_1017
; %bb.924:
	v_dual_mov_b32 v0, s18 :: v_dual_mov_b32 v1, s19
	v_dual_mov_b32 v2, s13 :: v_dual_mov_b32 v3, v35
	v_mov_b32_e32 v4, v34
	s_getpc_b64 s[0:1]
	s_add_u32 s0, s0, _ZN2at6native6invokeIZZZNS0_12_GLOBAL__N_130modified_bessel_k0_kernel_cudaERNS_18TensorIteratorBaseEENKUlvE_clEvENKUlvE_clEvEUldE_i15function_traitsIS7_EEENT1_11result_typeERKT_PrKPcPKT0_PKN3c1010ScalarTypeEi@rel32@lo+4
	s_addc_u32 s1, s1, _ZN2at6native6invokeIZZZNS0_12_GLOBAL__N_130modified_bessel_k0_kernel_cudaERNS_18TensorIteratorBaseEENKUlvE_clEvENKUlvE_clEvEUldE_i15function_traitsIS7_EEENT1_11result_typeERKT_PrKPcPKT0_PKN3c1010ScalarTypeEi@rel32@hi+12
	s_delay_alu instid0(SALU_CYCLE_1) | instskip(SKIP_2) | instid1(VALU_DEP_1)
	s_swappc_b64 s[30:31], s[0:1]
	v_mul_lo_u32 v2, v34, s12
	v_and_b32_e32 v6, 0xff, v37
	v_cmp_gt_i16_e32 vcc_lo, 11, v6
	s_delay_alu instid0(VALU_DEP_3) | instskip(SKIP_1) | instid1(VALU_DEP_1)
	v_ashrrev_i32_e32 v3, 31, v2
	v_add_co_u32 v4, s0, s16, v2
	v_add_co_ci_u32_e64 v5, s0, s17, v3, s0
	s_cbranch_vccnz .LBB9_931
; %bb.925:
	v_cmp_lt_i16_e32 vcc_lo, 25, v6
	s_mov_b32 s1, -1
	s_mov_b32 s0, s26
	s_cbranch_vccz .LBB9_975
; %bb.926:
	v_cmp_lt_i16_e32 vcc_lo, 28, v6
	s_mov_b32 s0, s26
	s_cbranch_vccz .LBB9_959
; %bb.927:
	v_cmp_lt_i16_e32 vcc_lo, 43, v6
	;; [unrolled: 4-line block ×3, first 2 shown]
	s_mov_b32 s0, s26
	s_cbranch_vccz .LBB9_949
; %bb.929:
	v_cmp_eq_u16_e32 vcc_lo, 46, v6
	s_mov_b32 s0, -1
	s_cbranch_vccz .LBB9_948
; %bb.930:
	v_cvt_f32_f64_e32 v2, v[0:1]
	s_mov_b32 s0, 0
	s_mov_b32 s1, 0
	s_delay_alu instid0(VALU_DEP_1) | instskip(SKIP_1) | instid1(VALU_DEP_2)
	v_bfe_u32 v3, v2, 16, 1
	v_cmp_o_f32_e32 vcc_lo, v2, v2
	v_add3_u32 v3, v2, v3, 0x7fff
	s_delay_alu instid0(VALU_DEP_1) | instskip(NEXT) | instid1(VALU_DEP_1)
	v_lshrrev_b32_e32 v3, 16, v3
	v_cndmask_b32_e32 v2, 0x7fc0, v3, vcc_lo
	global_store_b32 v[4:5], v2, off
	s_branch .LBB9_949
.LBB9_931:
	s_mov_b32 s2, 0
	s_mov_b32 s1, -1
	s_mov_b32 s0, s26
	s_branch .LBB9_1016
.LBB9_932:
	s_or_saveexec_b32 s3, s3
                                        ; implicit-def: $sgpr4
	s_delay_alu instid0(SALU_CYCLE_1)
	s_xor_b32 exec_lo, exec_lo, s3
	s_cbranch_execz .LBB9_831
.LBB9_933:
	v_add_f32_e64 v3, 0x46000000, |v2|
	s_and_not1_b32 s2, s2, exec_lo
	s_mov_b32 s4, 0
	s_delay_alu instid0(VALU_DEP_1) | instskip(NEXT) | instid1(VALU_DEP_1)
	v_and_b32_e32 v3, 0xff, v3
	v_cmp_ne_u32_e32 vcc_lo, 0, v3
	s_and_b32 s5, vcc_lo, exec_lo
	s_delay_alu instid0(SALU_CYCLE_1)
	s_or_b32 s2, s2, s5
	s_or_b32 exec_lo, exec_lo, s3
	v_mov_b32_e32 v7, s4
	s_and_saveexec_b32 s3, s2
	s_cbranch_execnz .LBB9_832
	s_branch .LBB9_833
.LBB9_934:
	s_or_saveexec_b32 s5, s5
                                        ; implicit-def: $sgpr6
	s_delay_alu instid0(SALU_CYCLE_1)
	s_xor_b32 exec_lo, exec_lo, s5
	s_cbranch_execz .LBB9_453
.LBB9_935:
	v_add_f32_e64 v7, 0x42800000, |v5|
	s_and_not1_b32 s4, s4, exec_lo
	s_mov_b32 s6, 0
	s_delay_alu instid0(VALU_DEP_1) | instskip(NEXT) | instid1(VALU_DEP_1)
	v_and_b32_e32 v7, 0xff, v7
	v_cmp_ne_u32_e32 vcc_lo, 0, v7
	s_and_b32 s7, vcc_lo, exec_lo
	s_delay_alu instid0(SALU_CYCLE_1)
	s_or_b32 s4, s4, s7
	s_or_b32 exec_lo, exec_lo, s5
	v_mov_b32_e32 v8, s6
	s_and_saveexec_b32 s5, s4
	s_cbranch_execnz .LBB9_454
	s_branch .LBB9_455
.LBB9_936:
	s_or_saveexec_b32 s5, s5
                                        ; implicit-def: $sgpr6
	s_delay_alu instid0(SALU_CYCLE_1)
	s_xor_b32 exec_lo, exec_lo, s5
	s_cbranch_execz .LBB9_520
.LBB9_937:
	v_add_f32_e64 v3, 0x46000000, |v2|
	s_and_not1_b32 s4, s4, exec_lo
	s_mov_b32 s6, 0
	s_delay_alu instid0(VALU_DEP_1) | instskip(NEXT) | instid1(VALU_DEP_1)
	v_and_b32_e32 v3, 0xff, v3
	v_cmp_ne_u32_e32 vcc_lo, 0, v3
	s_and_b32 s7, vcc_lo, exec_lo
	s_delay_alu instid0(SALU_CYCLE_1)
	s_or_b32 s4, s4, s7
	s_or_b32 exec_lo, exec_lo, s5
	v_mov_b32_e32 v7, s6
	s_and_saveexec_b32 s5, s4
	s_cbranch_execnz .LBB9_521
	s_branch .LBB9_522
.LBB9_938:
	s_trap 2
	s_sendmsg_rtn_b32 s0, sendmsg(MSG_RTN_GET_DOORBELL)
	s_mov_b32 ttmp2, m0
	s_waitcnt lgkmcnt(0)
	s_and_b32 s0, s0, 0x3ff
	s_delay_alu instid0(SALU_CYCLE_1) | instskip(NEXT) | instid1(SALU_CYCLE_1)
	s_bitset1_b32 s0, 10
	s_mov_b32 m0, s0
	s_sendmsg sendmsg(MSG_INTERRUPT)
	s_mov_b32 m0, ttmp2
.LBB9_939:                              ; =>This Inner Loop Header: Depth=1
	s_sethalt 5
	s_branch .LBB9_939
.LBB9_940:
	s_cbranch_execnz .LBB9_946
; %bb.941:
	s_mov_b32 s2, 0
	s_or_b32 s1, s1, exec_lo
	s_branch .LBB9_566
.LBB9_942:
	s_or_saveexec_b32 s3, s3
                                        ; implicit-def: $sgpr4
	s_delay_alu instid0(SALU_CYCLE_1)
	s_xor_b32 exec_lo, exec_lo, s3
	s_cbranch_execz .LBB9_844
.LBB9_943:
	v_add_f32_e64 v3, 0x42800000, |v2|
	s_and_not1_b32 s2, s2, exec_lo
	s_mov_b32 s4, 0
	s_delay_alu instid0(VALU_DEP_1) | instskip(NEXT) | instid1(VALU_DEP_1)
	v_and_b32_e32 v3, 0xff, v3
	v_cmp_ne_u32_e32 vcc_lo, 0, v3
	s_and_b32 s5, vcc_lo, exec_lo
	s_delay_alu instid0(SALU_CYCLE_1)
	s_or_b32 s2, s2, s5
	s_or_b32 exec_lo, exec_lo, s3
	v_mov_b32_e32 v7, s4
	s_and_saveexec_b32 s3, s2
	s_cbranch_execnz .LBB9_845
	s_branch .LBB9_846
.LBB9_944:
	s_or_saveexec_b32 s4, s4
                                        ; implicit-def: $sgpr5
	s_delay_alu instid0(SALU_CYCLE_1)
	s_xor_b32 exec_lo, exec_lo, s4
	s_cbranch_execz .LBB9_532
.LBB9_945:
	v_add_f32_e64 v3, 0x42800000, |v2|
	s_and_not1_b32 s3, s3, exec_lo
	s_mov_b32 s5, 0
	s_delay_alu instid0(VALU_DEP_1) | instskip(NEXT) | instid1(VALU_DEP_1)
	v_and_b32_e32 v3, 0xff, v3
	v_cmp_ne_u32_e32 vcc_lo, 0, v3
	s_and_b32 s6, vcc_lo, exec_lo
	s_delay_alu instid0(SALU_CYCLE_1)
	s_or_b32 s3, s3, s6
	s_or_b32 exec_lo, exec_lo, s4
	v_mov_b32_e32 v7, s5
	s_and_saveexec_b32 s4, s3
	s_cbranch_execnz .LBB9_533
	s_branch .LBB9_534
.LBB9_946:
	s_trap 2
	s_sendmsg_rtn_b32 s0, sendmsg(MSG_RTN_GET_DOORBELL)
	s_mov_b32 ttmp2, m0
	s_waitcnt lgkmcnt(0)
	s_and_b32 s0, s0, 0x3ff
	s_delay_alu instid0(SALU_CYCLE_1) | instskip(NEXT) | instid1(SALU_CYCLE_1)
	s_bitset1_b32 s0, 10
	s_mov_b32 m0, s0
	s_sendmsg sendmsg(MSG_INTERRUPT)
	s_mov_b32 m0, ttmp2
.LBB9_947:                              ; =>This Inner Loop Header: Depth=1
	s_sethalt 5
	s_branch .LBB9_947
.LBB9_948:
	s_mov_b32 s1, 0
.LBB9_949:
	s_delay_alu instid0(SALU_CYCLE_1)
	s_and_b32 vcc_lo, exec_lo, s1
	s_cbranch_vccz .LBB9_954
; %bb.950:
	v_cmp_eq_u16_e32 vcc_lo, 44, v6
	s_mov_b32 s0, -1
	s_cbranch_vccz .LBB9_954
; %bb.951:
	v_cvt_f32_f64_e32 v2, v[0:1]
	v_mov_b32_e32 v3, 0xff
	s_mov_b32 s1, exec_lo
	s_delay_alu instid0(VALU_DEP_2) | instskip(NEXT) | instid1(VALU_DEP_1)
	v_bfe_u32 v7, v2, 23, 8
	v_cmpx_ne_u32_e32 0xff, v7
; %bb.952:
	v_and_b32_e32 v3, 0x400000, v2
	v_and_or_b32 v7, 0x3fffff, v2, v7
	v_lshrrev_b32_e32 v2, 23, v2
	s_delay_alu instid0(VALU_DEP_3) | instskip(NEXT) | instid1(VALU_DEP_3)
	v_cmp_ne_u32_e32 vcc_lo, 0, v3
	v_cmp_ne_u32_e64 s0, 0, v7
	s_delay_alu instid0(VALU_DEP_1) | instskip(NEXT) | instid1(SALU_CYCLE_1)
	s_and_b32 s0, vcc_lo, s0
	v_cndmask_b32_e64 v3, 0, 1, s0
	s_delay_alu instid0(VALU_DEP_1)
	v_add_nc_u32_e32 v3, v2, v3
; %bb.953:
	s_or_b32 exec_lo, exec_lo, s1
	s_mov_b32 s0, 0
	global_store_b8 v[4:5], v3, off
.LBB9_954:
	s_mov_b32 s1, 0
.LBB9_955:
	s_delay_alu instid0(SALU_CYCLE_1)
	s_and_b32 vcc_lo, exec_lo, s1
	s_cbranch_vccz .LBB9_958
; %bb.956:
	v_cmp_eq_u16_e32 vcc_lo, 29, v6
	s_mov_b32 s0, -1
	s_cbranch_vccz .LBB9_958
; %bb.957:
	v_trunc_f64_e32 v[2:3], v[0:1]
	s_mov_b32 s0, 0
	s_mov_b32 s1, 0
	s_delay_alu instid0(VALU_DEP_1) | instskip(NEXT) | instid1(VALU_DEP_1)
	v_ldexp_f64 v[7:8], v[2:3], 0xffffffe0
	v_floor_f64_e32 v[7:8], v[7:8]
	s_delay_alu instid0(VALU_DEP_1) | instskip(SKIP_1) | instid1(VALU_DEP_2)
	v_fma_f64 v[2:3], 0xc1f00000, v[7:8], v[2:3]
	v_cvt_u32_f64_e32 v8, v[7:8]
	v_cvt_u32_f64_e32 v7, v[2:3]
	global_store_b64 v[4:5], v[7:8], off
	s_branch .LBB9_959
.LBB9_958:
	s_mov_b32 s1, 0
.LBB9_959:
	s_delay_alu instid0(SALU_CYCLE_1)
	s_and_b32 vcc_lo, exec_lo, s1
	s_cbranch_vccz .LBB9_974
; %bb.960:
	v_cmp_gt_i16_e32 vcc_lo, 27, v6
	s_mov_b32 s1, -1
	s_cbranch_vccnz .LBB9_966
; %bb.961:
	v_cmp_lt_i16_e32 vcc_lo, 27, v6
	s_cbranch_vccz .LBB9_963
; %bb.962:
	v_cvt_u32_f64_e32 v2, v[0:1]
	s_mov_b32 s1, 0
	global_store_b32 v[4:5], v2, off
.LBB9_963:
	s_and_not1_b32 vcc_lo, exec_lo, s1
	s_cbranch_vccnz .LBB9_965
; %bb.964:
	v_cvt_u32_f64_e32 v2, v[0:1]
	global_store_b16 v[4:5], v2, off
.LBB9_965:
	s_mov_b32 s1, 0
.LBB9_966:
	s_delay_alu instid0(SALU_CYCLE_1)
	s_and_not1_b32 vcc_lo, exec_lo, s1
	s_cbranch_vccnz .LBB9_974
; %bb.967:
	v_cvt_f32_f64_e32 v2, v[0:1]
	v_mov_b32_e32 v7, 0x80
	s_mov_b32 s1, exec_lo
	s_delay_alu instid0(VALU_DEP_2) | instskip(NEXT) | instid1(VALU_DEP_1)
	v_and_b32_e32 v3, 0x7fffffff, v2
	v_cmpx_gt_u32_e32 0x43800000, v3
	s_cbranch_execz .LBB9_973
; %bb.968:
	v_cmp_lt_u32_e32 vcc_lo, 0x3bffffff, v3
	s_mov_b32 s2, 0
                                        ; implicit-def: $vgpr3
	s_and_saveexec_b32 s3, vcc_lo
	s_delay_alu instid0(SALU_CYCLE_1)
	s_xor_b32 s3, exec_lo, s3
	s_cbranch_execz .LBB9_1024
; %bb.969:
	v_bfe_u32 v3, v2, 20, 1
	s_mov_b32 s2, exec_lo
	s_delay_alu instid0(VALU_DEP_1) | instskip(NEXT) | instid1(VALU_DEP_1)
	v_add3_u32 v3, v2, v3, 0x487ffff
	v_lshrrev_b32_e32 v3, 20, v3
	s_or_saveexec_b32 s3, s3
                                        ; implicit-def: $sgpr4
	s_delay_alu instid0(SALU_CYCLE_1)
	s_xor_b32 exec_lo, exec_lo, s3
	s_cbranch_execnz .LBB9_1025
.LBB9_970:
	s_or_b32 exec_lo, exec_lo, s3
	v_mov_b32_e32 v7, s4
	s_and_saveexec_b32 s3, s2
.LBB9_971:
	v_lshrrev_b32_e32 v2, 24, v2
	s_delay_alu instid0(VALU_DEP_1)
	v_and_or_b32 v7, 0x80, v2, v3
.LBB9_972:
	s_or_b32 exec_lo, exec_lo, s3
.LBB9_973:
	s_delay_alu instid0(SALU_CYCLE_1)
	s_or_b32 exec_lo, exec_lo, s1
	global_store_b8 v[4:5], v7, off
.LBB9_974:
	s_mov_b32 s1, 0
.LBB9_975:
	s_delay_alu instid0(SALU_CYCLE_1)
	s_and_b32 vcc_lo, exec_lo, s1
	s_mov_b32 s1, 0
	s_cbranch_vccz .LBB9_1015
; %bb.976:
	v_cmp_lt_i16_e32 vcc_lo, 22, v6
	s_mov_b32 s2, -1
	s_cbranch_vccz .LBB9_1008
; %bb.977:
	v_cmp_gt_i16_e32 vcc_lo, 24, v6
	s_cbranch_vccnz .LBB9_997
; %bb.978:
	v_cmp_lt_i16_e32 vcc_lo, 24, v6
	s_cbranch_vccz .LBB9_986
; %bb.979:
	v_cvt_f32_f64_e32 v2, v[0:1]
	v_mov_b32_e32 v7, 0x80
	s_mov_b32 s2, exec_lo
	s_delay_alu instid0(VALU_DEP_2) | instskip(NEXT) | instid1(VALU_DEP_1)
	v_and_b32_e32 v3, 0x7fffffff, v2
	v_cmpx_gt_u32_e32 0x47800000, v3
	s_cbranch_execz .LBB9_985
; %bb.980:
	v_cmp_lt_u32_e32 vcc_lo, 0x37ffffff, v3
	s_mov_b32 s3, 0
                                        ; implicit-def: $vgpr3
	s_and_saveexec_b32 s4, vcc_lo
	s_delay_alu instid0(SALU_CYCLE_1)
	s_xor_b32 s4, exec_lo, s4
	s_cbranch_execz .LBB9_1026
; %bb.981:
	v_bfe_u32 v3, v2, 21, 1
	s_mov_b32 s3, exec_lo
	s_delay_alu instid0(VALU_DEP_1) | instskip(NEXT) | instid1(VALU_DEP_1)
	v_add3_u32 v3, v2, v3, 0x88fffff
	v_lshrrev_b32_e32 v3, 21, v3
	s_or_saveexec_b32 s4, s4
                                        ; implicit-def: $sgpr5
	s_delay_alu instid0(SALU_CYCLE_1)
	s_xor_b32 exec_lo, exec_lo, s4
	s_cbranch_execnz .LBB9_1027
.LBB9_982:
	s_or_b32 exec_lo, exec_lo, s4
	v_mov_b32_e32 v7, s5
	s_and_saveexec_b32 s4, s3
.LBB9_983:
	v_lshrrev_b32_e32 v2, 24, v2
	s_delay_alu instid0(VALU_DEP_1)
	v_and_or_b32 v7, 0x80, v2, v3
.LBB9_984:
	s_or_b32 exec_lo, exec_lo, s4
.LBB9_985:
	s_delay_alu instid0(SALU_CYCLE_1)
	s_or_b32 exec_lo, exec_lo, s2
	s_mov_b32 s2, 0
	global_store_b8 v[4:5], v7, off
.LBB9_986:
	s_and_b32 vcc_lo, exec_lo, s2
	s_cbranch_vccz .LBB9_996
; %bb.987:
	v_cvt_f32_f64_e32 v2, v[0:1]
	s_mov_b32 s2, exec_lo
                                        ; implicit-def: $vgpr3
	s_delay_alu instid0(VALU_DEP_1) | instskip(NEXT) | instid1(VALU_DEP_1)
	v_and_b32_e32 v7, 0x7fffffff, v2
	v_cmpx_gt_u32_e32 0x43f00000, v7
	s_xor_b32 s2, exec_lo, s2
	s_cbranch_execz .LBB9_993
; %bb.988:
	s_mov_b32 s3, exec_lo
                                        ; implicit-def: $vgpr3
	v_cmpx_lt_u32_e32 0x3c7fffff, v7
	s_xor_b32 s3, exec_lo, s3
; %bb.989:
	v_bfe_u32 v3, v2, 20, 1
	s_delay_alu instid0(VALU_DEP_1) | instskip(NEXT) | instid1(VALU_DEP_1)
	v_add3_u32 v3, v2, v3, 0x407ffff
	v_and_b32_e32 v7, 0xff00000, v3
	v_lshrrev_b32_e32 v3, 20, v3
	s_delay_alu instid0(VALU_DEP_2) | instskip(NEXT) | instid1(VALU_DEP_2)
	v_cmp_ne_u32_e32 vcc_lo, 0x7f00000, v7
	v_cndmask_b32_e32 v3, 0x7e, v3, vcc_lo
; %bb.990:
	s_and_not1_saveexec_b32 s3, s3
; %bb.991:
	v_add_f32_e64 v3, 0x46800000, |v2|
; %bb.992:
	s_or_b32 exec_lo, exec_lo, s3
                                        ; implicit-def: $vgpr7
.LBB9_993:
	s_and_not1_saveexec_b32 s2, s2
; %bb.994:
	v_mov_b32_e32 v3, 0x7f
	v_cmp_lt_u32_e32 vcc_lo, 0x7f800000, v7
	s_delay_alu instid0(VALU_DEP_2)
	v_cndmask_b32_e32 v3, 0x7e, v3, vcc_lo
; %bb.995:
	s_or_b32 exec_lo, exec_lo, s2
	v_lshrrev_b32_e32 v2, 24, v2
	s_delay_alu instid0(VALU_DEP_1)
	v_and_or_b32 v2, 0x80, v2, v3
	global_store_b8 v[4:5], v2, off
.LBB9_996:
	s_mov_b32 s2, 0
.LBB9_997:
	s_delay_alu instid0(SALU_CYCLE_1)
	s_and_not1_b32 vcc_lo, exec_lo, s2
	s_cbranch_vccnz .LBB9_1007
; %bb.998:
	v_cvt_f32_f64_e32 v2, v[0:1]
	s_mov_b32 s2, exec_lo
                                        ; implicit-def: $vgpr3
	s_delay_alu instid0(VALU_DEP_1) | instskip(NEXT) | instid1(VALU_DEP_1)
	v_and_b32_e32 v7, 0x7fffffff, v2
	v_cmpx_gt_u32_e32 0x47800000, v7
	s_xor_b32 s2, exec_lo, s2
	s_cbranch_execz .LBB9_1004
; %bb.999:
	s_mov_b32 s3, exec_lo
                                        ; implicit-def: $vgpr3
	v_cmpx_lt_u32_e32 0x387fffff, v7
	s_xor_b32 s3, exec_lo, s3
; %bb.1000:
	v_bfe_u32 v3, v2, 21, 1
	s_delay_alu instid0(VALU_DEP_1) | instskip(NEXT) | instid1(VALU_DEP_1)
	v_add3_u32 v3, v2, v3, 0x80fffff
	v_lshrrev_b32_e32 v3, 21, v3
; %bb.1001:
	s_and_not1_saveexec_b32 s3, s3
; %bb.1002:
	v_add_f32_e64 v3, 0x43000000, |v2|
; %bb.1003:
	s_or_b32 exec_lo, exec_lo, s3
                                        ; implicit-def: $vgpr7
.LBB9_1004:
	s_and_not1_saveexec_b32 s2, s2
; %bb.1005:
	v_mov_b32_e32 v3, 0x7f
	v_cmp_lt_u32_e32 vcc_lo, 0x7f800000, v7
	s_delay_alu instid0(VALU_DEP_2)
	v_cndmask_b32_e32 v3, 0x7c, v3, vcc_lo
; %bb.1006:
	s_or_b32 exec_lo, exec_lo, s2
	v_lshrrev_b32_e32 v2, 24, v2
	s_delay_alu instid0(VALU_DEP_1)
	v_and_or_b32 v2, 0x80, v2, v3
	global_store_b8 v[4:5], v2, off
.LBB9_1007:
	s_mov_b32 s2, 0
.LBB9_1008:
	s_delay_alu instid0(SALU_CYCLE_1)
	s_and_not1_b32 vcc_lo, exec_lo, s2
	s_mov_b32 s2, 0
	s_cbranch_vccnz .LBB9_1016
; %bb.1009:
	v_cmp_lt_i16_e32 vcc_lo, 14, v6
	s_mov_b32 s2, -1
	s_cbranch_vccz .LBB9_1013
; %bb.1010:
	v_cmp_eq_u16_e32 vcc_lo, 15, v6
	s_mov_b32 s0, -1
	s_cbranch_vccz .LBB9_1012
; %bb.1011:
	v_cvt_f32_f64_e32 v2, v[0:1]
	s_mov_b32 s0, 0
	s_delay_alu instid0(VALU_DEP_1) | instskip(SKIP_1) | instid1(VALU_DEP_2)
	v_bfe_u32 v3, v2, 16, 1
	v_cmp_o_f32_e32 vcc_lo, v2, v2
	v_add3_u32 v3, v2, v3, 0x7fff
	s_delay_alu instid0(VALU_DEP_1) | instskip(NEXT) | instid1(VALU_DEP_1)
	v_lshrrev_b32_e32 v3, 16, v3
	v_cndmask_b32_e32 v2, 0x7fc0, v3, vcc_lo
	global_store_b16 v[4:5], v2, off
.LBB9_1012:
	s_mov_b32 s2, 0
.LBB9_1013:
	s_delay_alu instid0(SALU_CYCLE_1)
	s_and_b32 vcc_lo, exec_lo, s2
	s_mov_b32 s2, 0
	s_cbranch_vccz .LBB9_1016
; %bb.1014:
	v_cmp_ne_u16_e32 vcc_lo, 11, v6
	s_and_not1_b32 s0, s0, exec_lo
	s_mov_b32 s2, -1
	s_and_b32 s3, vcc_lo, exec_lo
	s_delay_alu instid0(SALU_CYCLE_1)
	s_or_b32 s0, s0, s3
	s_branch .LBB9_1016
.LBB9_1015:
	s_mov_b32 s2, 0
.LBB9_1016:
	s_and_not1_b32 s3, s26, exec_lo
	s_and_b32 s4, s0, exec_lo
	s_and_b32 s1, s1, exec_lo
	;; [unrolled: 1-line block ×3, first 2 shown]
	s_or_b32 s2, s3, s4
.LBB9_1017:
	s_or_b32 exec_lo, exec_lo, s21
	s_delay_alu instid0(SALU_CYCLE_1)
	s_and_not1_b32 s3, s26, exec_lo
	s_and_b32 s2, s2, exec_lo
	s_and_b32 s1, s1, exec_lo
	;; [unrolled: 1-line block ×3, first 2 shown]
	s_or_b32 s26, s3, s2
.LBB9_1018:
	s_or_b32 exec_lo, exec_lo, s25
	s_delay_alu instid0(SALU_CYCLE_1)
	s_and_not1_b32 s2, s23, exec_lo
	s_and_b32 s3, s26, exec_lo
	s_and_b32 s1, s1, exec_lo
	;; [unrolled: 1-line block ×3, first 2 shown]
	s_or_b32 s23, s2, s3
.LBB9_1019:
	s_or_b32 exec_lo, exec_lo, s24
	s_delay_alu instid0(SALU_CYCLE_1)
	s_and_not1_b32 s2, s20, exec_lo
	s_and_b32 s3, s23, exec_lo
	s_and_b32 s1, s1, exec_lo
	;; [unrolled: 1-line block ×3, first 2 shown]
	s_or_b32 s20, s2, s3
	s_or_b32 exec_lo, exec_lo, s22
	s_mov_b32 s0, 0
	s_and_saveexec_b32 s2, s20
	s_cbranch_execz .LBB9_134
.LBB9_1020:
	s_cbranch_execnz .LBB9_1022
; %bb.1021:
	s_mov_b32 s0, exec_lo
	s_and_not1_b32 s23, s23, exec_lo
	s_or_b32 exec_lo, exec_lo, s2
	s_and_saveexec_b32 s2, s23
	s_delay_alu instid0(SALU_CYCLE_1)
	s_xor_b32 s2, exec_lo, s2
	s_cbranch_execnz .LBB9_135
	s_branch .LBB9_136
.LBB9_1022:
	s_trap 2
	s_sendmsg_rtn_b32 s0, sendmsg(MSG_RTN_GET_DOORBELL)
	s_mov_b32 ttmp2, m0
	s_waitcnt lgkmcnt(0)
	s_and_b32 s0, s0, 0x3ff
	s_delay_alu instid0(SALU_CYCLE_1) | instskip(NEXT) | instid1(SALU_CYCLE_1)
	s_bitset1_b32 s0, 10
	s_mov_b32 m0, s0
	s_sendmsg sendmsg(MSG_INTERRUPT)
	s_mov_b32 m0, ttmp2
.LBB9_1023:                             ; =>This Inner Loop Header: Depth=1
	s_sethalt 5
	s_branch .LBB9_1023
.LBB9_1024:
	s_or_saveexec_b32 s3, s3
                                        ; implicit-def: $sgpr4
	s_delay_alu instid0(SALU_CYCLE_1)
	s_xor_b32 exec_lo, exec_lo, s3
	s_cbranch_execz .LBB9_970
.LBB9_1025:
	v_add_f32_e64 v3, 0x46000000, |v2|
	s_and_not1_b32 s2, s2, exec_lo
	s_mov_b32 s4, 0
	s_delay_alu instid0(VALU_DEP_1) | instskip(NEXT) | instid1(VALU_DEP_1)
	v_and_b32_e32 v3, 0xff, v3
	v_cmp_ne_u32_e32 vcc_lo, 0, v3
	s_and_b32 s5, vcc_lo, exec_lo
	s_delay_alu instid0(SALU_CYCLE_1)
	s_or_b32 s2, s2, s5
	s_or_b32 exec_lo, exec_lo, s3
	v_mov_b32_e32 v7, s4
	s_and_saveexec_b32 s3, s2
	s_cbranch_execnz .LBB9_971
	s_branch .LBB9_972
.LBB9_1026:
	s_or_saveexec_b32 s4, s4
                                        ; implicit-def: $sgpr5
	s_delay_alu instid0(SALU_CYCLE_1)
	s_xor_b32 exec_lo, exec_lo, s4
	s_cbranch_execz .LBB9_982
.LBB9_1027:
	v_add_f32_e64 v3, 0x42800000, |v2|
	s_and_not1_b32 s3, s3, exec_lo
	s_mov_b32 s5, 0
	s_delay_alu instid0(VALU_DEP_1) | instskip(NEXT) | instid1(VALU_DEP_1)
	v_and_b32_e32 v3, 0xff, v3
	v_cmp_ne_u32_e32 vcc_lo, 0, v3
	s_and_b32 s6, vcc_lo, exec_lo
	s_delay_alu instid0(SALU_CYCLE_1)
	s_or_b32 s3, s3, s6
	s_or_b32 exec_lo, exec_lo, s4
	v_mov_b32_e32 v7, s5
	s_and_saveexec_b32 s4, s3
	s_cbranch_execnz .LBB9_983
	s_branch .LBB9_984
	.section	.rodata,"a",@progbits
	.p2align	6, 0x0
	.amdhsa_kernel _ZN2at6native32elementwise_kernel_manual_unrollILi128ELi4EZNS0_15gpu_kernel_implIZZZNS0_12_GLOBAL__N_130modified_bessel_k0_kernel_cudaERNS_18TensorIteratorBaseEENKUlvE_clEvENKUlvE_clEvEUldE_EEvS5_RKT_EUlibE_EEviT1_
		.amdhsa_group_segment_fixed_size 0
		.amdhsa_private_segment_fixed_size 0
		.amdhsa_kernarg_size 40
		.amdhsa_user_sgpr_count 15
		.amdhsa_user_sgpr_dispatch_ptr 0
		.amdhsa_user_sgpr_queue_ptr 0
		.amdhsa_user_sgpr_kernarg_segment_ptr 1
		.amdhsa_user_sgpr_dispatch_id 0
		.amdhsa_user_sgpr_private_segment_size 0
		.amdhsa_wavefront_size32 1
		.amdhsa_uses_dynamic_stack 0
		.amdhsa_enable_private_segment 0
		.amdhsa_system_sgpr_workgroup_id_x 1
		.amdhsa_system_sgpr_workgroup_id_y 0
		.amdhsa_system_sgpr_workgroup_id_z 0
		.amdhsa_system_sgpr_workgroup_info 0
		.amdhsa_system_vgpr_workitem_id 0
		.amdhsa_next_free_vgpr 38
		.amdhsa_next_free_sgpr 33
		.amdhsa_reserve_vcc 1
		.amdhsa_float_round_mode_32 0
		.amdhsa_float_round_mode_16_64 0
		.amdhsa_float_denorm_mode_32 3
		.amdhsa_float_denorm_mode_16_64 3
		.amdhsa_dx10_clamp 1
		.amdhsa_ieee_mode 1
		.amdhsa_fp16_overflow 0
		.amdhsa_workgroup_processor_mode 1
		.amdhsa_memory_ordered 1
		.amdhsa_forward_progress 0
		.amdhsa_shared_vgpr_count 0
		.amdhsa_exception_fp_ieee_invalid_op 0
		.amdhsa_exception_fp_denorm_src 0
		.amdhsa_exception_fp_ieee_div_zero 0
		.amdhsa_exception_fp_ieee_overflow 0
		.amdhsa_exception_fp_ieee_underflow 0
		.amdhsa_exception_fp_ieee_inexact 0
		.amdhsa_exception_int_div_zero 0
	.end_amdhsa_kernel
	.section	.text._ZN2at6native32elementwise_kernel_manual_unrollILi128ELi4EZNS0_15gpu_kernel_implIZZZNS0_12_GLOBAL__N_130modified_bessel_k0_kernel_cudaERNS_18TensorIteratorBaseEENKUlvE_clEvENKUlvE_clEvEUldE_EEvS5_RKT_EUlibE_EEviT1_,"axG",@progbits,_ZN2at6native32elementwise_kernel_manual_unrollILi128ELi4EZNS0_15gpu_kernel_implIZZZNS0_12_GLOBAL__N_130modified_bessel_k0_kernel_cudaERNS_18TensorIteratorBaseEENKUlvE_clEvENKUlvE_clEvEUldE_EEvS5_RKT_EUlibE_EEviT1_,comdat
.Lfunc_end9:
	.size	_ZN2at6native32elementwise_kernel_manual_unrollILi128ELi4EZNS0_15gpu_kernel_implIZZZNS0_12_GLOBAL__N_130modified_bessel_k0_kernel_cudaERNS_18TensorIteratorBaseEENKUlvE_clEvENKUlvE_clEvEUldE_EEvS5_RKT_EUlibE_EEviT1_, .Lfunc_end9-_ZN2at6native32elementwise_kernel_manual_unrollILi128ELi4EZNS0_15gpu_kernel_implIZZZNS0_12_GLOBAL__N_130modified_bessel_k0_kernel_cudaERNS_18TensorIteratorBaseEENKUlvE_clEvENKUlvE_clEvEUldE_EEvS5_RKT_EUlibE_EEviT1_
                                        ; -- End function
	.section	.AMDGPU.csdata,"",@progbits
; Kernel info:
; codeLenInByte = 18460
; NumSgprs: 35
; NumVgprs: 38
; ScratchSize: 0
; MemoryBound: 0
; FloatMode: 240
; IeeeMode: 1
; LDSByteSize: 0 bytes/workgroup (compile time only)
; SGPRBlocks: 4
; VGPRBlocks: 4
; NumSGPRsForWavesPerEU: 35
; NumVGPRsForWavesPerEU: 38
; Occupancy: 16
; WaveLimiterHint : 0
; COMPUTE_PGM_RSRC2:SCRATCH_EN: 0
; COMPUTE_PGM_RSRC2:USER_SGPR: 15
; COMPUTE_PGM_RSRC2:TRAP_HANDLER: 0
; COMPUTE_PGM_RSRC2:TGID_X_EN: 1
; COMPUTE_PGM_RSRC2:TGID_Y_EN: 0
; COMPUTE_PGM_RSRC2:TGID_Z_EN: 0
; COMPUTE_PGM_RSRC2:TIDIG_COMP_CNT: 0
	.text
	.p2align	2                               ; -- Begin function _ZN2at6native6invokeIZZZNS0_12_GLOBAL__N_130modified_bessel_k0_kernel_cudaERNS_18TensorIteratorBaseEENKUlvE_clEvENKUlvE_clEvEUldE_j15function_traitsIS7_EEENT1_11result_typeERKT_PrKPcPKT0_PKN3c1010ScalarTypeEi
	.type	_ZN2at6native6invokeIZZZNS0_12_GLOBAL__N_130modified_bessel_k0_kernel_cudaERNS_18TensorIteratorBaseEENKUlvE_clEvENKUlvE_clEvEUldE_j15function_traitsIS7_EEENT1_11result_typeERKT_PrKPcPKT0_PKN3c1010ScalarTypeEi,@function
_ZN2at6native6invokeIZZZNS0_12_GLOBAL__N_130modified_bessel_k0_kernel_cudaERNS_18TensorIteratorBaseEENKUlvE_clEvENKUlvE_clEvEUldE_j15function_traitsIS7_EEENT1_11result_typeERKT_PrKPcPKT0_PKN3c1010ScalarTypeEi: ; @_ZN2at6native6invokeIZZZNS0_12_GLOBAL__N_130modified_bessel_k0_kernel_cudaERNS_18TensorIteratorBaseEENKUlvE_clEvENKUlvE_clEvEUldE_j15function_traitsIS7_EEENT1_11result_typeERKT_PrKPcPKT0_PKN3c1010ScalarTypeEi
; %bb.0:
	s_waitcnt vmcnt(0) expcnt(0) lgkmcnt(0)
	v_add_co_u32 v0, vcc_lo, v0, v2
	v_and_b32_e32 v4, 0xff, v3
	v_add_co_ci_u32_e32 v1, vcc_lo, 0, v1, vcc_lo
	s_mov_b32 s0, 0
                                        ; implicit-def: $vgpr2_vgpr3
	s_mov_b32 s1, exec_lo
	s_delay_alu instid0(VALU_DEP_2)
	v_cmpx_lt_i16_e32 10, v4
	s_xor_b32 s2, exec_lo, s1
	s_cbranch_execz .LBB10_7
; %bb.1:
	s_mov_b32 s3, 0
	s_mov_b32 s6, 0
	;; [unrolled: 1-line block ×3, first 2 shown]
                                        ; implicit-def: $vgpr2_vgpr3
	s_mov_b32 s0, exec_lo
	v_cmpx_lt_i16_e32 25, v4
	s_xor_b32 s5, exec_lo, s0
	s_cbranch_execnz .LBB10_64
; %bb.2:
	s_and_not1_saveexec_b32 s5, s5
	s_cbranch_execnz .LBB10_99
.LBB10_3:
	s_or_b32 exec_lo, exec_lo, s5
	s_and_saveexec_b32 s0, s6
	s_cbranch_execnz .LBB10_126
.LBB10_4:
	s_or_b32 exec_lo, exec_lo, s0
	s_and_saveexec_b32 s0, s3
	s_delay_alu instid0(SALU_CYCLE_1)
	s_xor_b32 s0, exec_lo, s0
	s_cbranch_execz .LBB10_6
.LBB10_5:
	flat_load_u8 v0, v[0:1]
	v_mov_b32_e32 v2, 0
	s_or_b32 s4, s4, exec_lo
	s_waitcnt vmcnt(0) lgkmcnt(0)
	v_cmp_ne_u16_e32 vcc_lo, 0, v0
	v_cndmask_b32_e64 v3, 0, 0x3ff00000, vcc_lo
.LBB10_6:
	s_or_b32 exec_lo, exec_lo, s0
	s_delay_alu instid0(SALU_CYCLE_1)
	s_and_b32 s0, s4, exec_lo
                                        ; implicit-def: $vgpr4
                                        ; implicit-def: $vgpr0_vgpr1
.LBB10_7:
	s_and_not1_saveexec_b32 s1, s2
	s_cbranch_execnz .LBB10_10
; %bb.8:
	s_or_b32 exec_lo, exec_lo, s1
                                        ; implicit-def: $vgpr0_vgpr1
	s_and_saveexec_b32 s1, s0
	s_cbranch_execnz .LBB10_51
.LBB10_9:
	s_or_b32 exec_lo, exec_lo, s1
	s_waitcnt vmcnt(0) lgkmcnt(0)
	s_setpc_b64 s[30:31]
.LBB10_10:
	s_mov_b32 s2, exec_lo
                                        ; implicit-def: $vgpr2_vgpr3
	v_cmpx_lt_i16_e32 4, v4
	s_xor_b32 s2, exec_lo, s2
	s_cbranch_execz .LBB10_32
; %bb.11:
	s_mov_b32 s3, exec_lo
                                        ; implicit-def: $vgpr2_vgpr3
	v_cmpx_lt_i16_e32 7, v4
	s_xor_b32 s3, exec_lo, s3
	s_cbranch_execz .LBB10_21
; %bb.12:
	;; [unrolled: 6-line block ×4, first 2 shown]
	flat_load_b64 v[2:3], v[0:1]
                                        ; implicit-def: $vgpr0_vgpr1
.LBB10_15:
	s_and_not1_saveexec_b32 s5, s5
	s_cbranch_execz .LBB10_17
; %bb.16:
	flat_load_b32 v0, v[0:1]
	s_waitcnt vmcnt(0) lgkmcnt(0)
	v_cvt_f64_f32_e32 v[2:3], v0
.LBB10_17:
	s_or_b32 exec_lo, exec_lo, s5
                                        ; implicit-def: $vgpr0_vgpr1
.LBB10_18:
	s_and_not1_saveexec_b32 s4, s4
	s_cbranch_execz .LBB10_20
; %bb.19:
	flat_load_b32 v0, v[0:1]
	s_waitcnt vmcnt(0) lgkmcnt(0)
	v_cvt_f32_f16_e32 v0, v0
	s_delay_alu instid0(VALU_DEP_1)
	v_cvt_f64_f32_e32 v[2:3], v0
.LBB10_20:
	s_or_b32 exec_lo, exec_lo, s4
                                        ; implicit-def: $vgpr0_vgpr1
                                        ; implicit-def: $vgpr4
.LBB10_21:
	s_and_not1_saveexec_b32 s3, s3
	s_cbranch_execz .LBB10_31
; %bb.22:
	s_mov_b32 s4, exec_lo
                                        ; implicit-def: $vgpr2_vgpr3
	v_cmpx_lt_i16_e32 5, v4
	s_xor_b32 s4, exec_lo, s4
	s_cbranch_execz .LBB10_28
; %bb.23:
	s_mov_b32 s5, exec_lo
                                        ; implicit-def: $vgpr2_vgpr3
	v_cmpx_lt_i16_e32 6, v4
	s_xor_b32 s5, exec_lo, s5
	s_cbranch_execz .LBB10_25
; %bb.24:
	s_waitcnt vmcnt(0) lgkmcnt(0)
	flat_load_b64 v[2:3], v[0:1]
                                        ; implicit-def: $vgpr0_vgpr1
.LBB10_25:
	s_and_not1_saveexec_b32 s5, s5
	s_cbranch_execz .LBB10_27
; %bb.26:
	flat_load_b32 v0, v[0:1]
	s_waitcnt vmcnt(0) lgkmcnt(0)
	v_cvt_f64_f32_e32 v[2:3], v0
.LBB10_27:
	s_or_b32 exec_lo, exec_lo, s5
                                        ; implicit-def: $vgpr0_vgpr1
.LBB10_28:
	s_and_not1_saveexec_b32 s4, s4
	s_cbranch_execz .LBB10_30
; %bb.29:
	flat_load_u16 v0, v[0:1]
	s_waitcnt vmcnt(0) lgkmcnt(0)
	v_cvt_f32_f16_e32 v0, v0
	s_delay_alu instid0(VALU_DEP_1)
	v_cvt_f64_f32_e32 v[2:3], v0
.LBB10_30:
	s_or_b32 exec_lo, exec_lo, s4
.LBB10_31:
	s_delay_alu instid0(SALU_CYCLE_1)
	s_or_b32 exec_lo, exec_lo, s3
                                        ; implicit-def: $vgpr4
                                        ; implicit-def: $vgpr0_vgpr1
.LBB10_32:
	s_and_not1_saveexec_b32 s2, s2
	s_cbranch_execz .LBB10_50
; %bb.33:
	s_mov_b32 s3, exec_lo
                                        ; implicit-def: $vgpr2_vgpr3
	v_cmpx_lt_i16_e32 1, v4
	s_xor_b32 s3, exec_lo, s3
	s_cbranch_execz .LBB10_43
; %bb.34:
	s_mov_b32 s4, exec_lo
                                        ; implicit-def: $vgpr2_vgpr3
	v_cmpx_lt_i16_e32 2, v4
	s_xor_b32 s4, exec_lo, s4
	s_cbranch_execz .LBB10_40
; %bb.35:
	s_mov_b32 s5, exec_lo
                                        ; implicit-def: $vgpr2_vgpr3
	v_cmpx_lt_i16_e32 3, v4
	s_xor_b32 s5, exec_lo, s5
	s_cbranch_execz .LBB10_37
; %bb.36:
	flat_load_b64 v[0:1], v[0:1]
	s_waitcnt vmcnt(0) lgkmcnt(0)
	v_cvt_f64_i32_e32 v[1:2], v1
	v_cvt_f64_u32_e32 v[3:4], v0
	s_delay_alu instid0(VALU_DEP_2) | instskip(NEXT) | instid1(VALU_DEP_1)
	v_ldexp_f64 v[1:2], v[1:2], 32
	v_add_f64 v[2:3], v[1:2], v[3:4]
                                        ; implicit-def: $vgpr0_vgpr1
.LBB10_37:
	s_and_not1_saveexec_b32 s5, s5
	s_cbranch_execz .LBB10_39
; %bb.38:
	flat_load_b32 v0, v[0:1]
	s_waitcnt vmcnt(0) lgkmcnt(0)
	v_cvt_f64_i32_e32 v[2:3], v0
.LBB10_39:
	s_or_b32 exec_lo, exec_lo, s5
                                        ; implicit-def: $vgpr0_vgpr1
.LBB10_40:
	s_and_not1_saveexec_b32 s4, s4
	s_cbranch_execz .LBB10_42
; %bb.41:
	flat_load_i16 v0, v[0:1]
	s_waitcnt vmcnt(0) lgkmcnt(0)
	v_cvt_f64_i32_e32 v[2:3], v0
.LBB10_42:
	s_or_b32 exec_lo, exec_lo, s4
                                        ; implicit-def: $vgpr0_vgpr1
                                        ; implicit-def: $vgpr4
.LBB10_43:
	s_and_not1_saveexec_b32 s3, s3
	s_cbranch_execz .LBB10_49
; %bb.44:
	s_mov_b32 s4, exec_lo
                                        ; implicit-def: $vgpr2_vgpr3
	v_cmpx_lt_i16_e32 0, v4
	s_xor_b32 s4, exec_lo, s4
	s_cbranch_execz .LBB10_46
; %bb.45:
	flat_load_i8 v0, v[0:1]
	s_waitcnt vmcnt(0) lgkmcnt(0)
	v_cvt_f64_i32_e32 v[2:3], v0
                                        ; implicit-def: $vgpr0_vgpr1
.LBB10_46:
	s_and_not1_saveexec_b32 s4, s4
	s_cbranch_execz .LBB10_48
; %bb.47:
	flat_load_u8 v0, v[0:1]
	s_waitcnt vmcnt(0) lgkmcnt(0)
	v_cvt_f64_u32_e32 v[2:3], v0
.LBB10_48:
	s_or_b32 exec_lo, exec_lo, s4
.LBB10_49:
	s_delay_alu instid0(SALU_CYCLE_1)
	s_or_b32 exec_lo, exec_lo, s3
.LBB10_50:
	s_delay_alu instid0(SALU_CYCLE_1) | instskip(NEXT) | instid1(SALU_CYCLE_1)
	s_or_b32 exec_lo, exec_lo, s2
	s_or_b32 s0, s0, exec_lo
	s_or_b32 exec_lo, exec_lo, s1
                                        ; implicit-def: $vgpr0_vgpr1
	s_and_saveexec_b32 s1, s0
	s_cbranch_execz .LBB10_9
.LBB10_51:
	v_mov_b32_e32 v0, 0
	v_mov_b32_e32 v1, 0x7ff00000
	s_mov_b32 s2, exec_lo
	s_waitcnt vmcnt(0) lgkmcnt(0)
	s_delay_alu instid0(VALU_DEP_3)
	v_cmpx_neq_f64_e32 0, v[2:3]
	s_cbranch_execz .LBB10_63
; %bb.52:
	v_mov_b32_e32 v0, 0
	v_mov_b32_e32 v1, 0x7ff80000
	s_mov_b32 s3, exec_lo
	v_cmpx_ngt_f64_e32 0, v[2:3]
	s_cbranch_execz .LBB10_62
; %bb.53:
                                        ; implicit-def: $vgpr0_vgpr1
	s_mov_b32 s0, exec_lo
	v_cmpx_ge_f64_e32 2.0, v[2:3]
	s_xor_b32 s4, exec_lo, s0
	s_cbranch_execz .LBB10_59
; %bb.54:
	v_mul_f64 v[0:1], v[2:3], 0.5
	s_mov_b32 s0, exec_lo
                                        ; implicit-def: $vgpr4_vgpr5
	v_cmpx_ge_f64_e32 0x40200000, v[2:3]
	s_xor_b32 s0, exec_lo, s0
	s_cbranch_execz .LBB10_56
; %bb.55:
	s_delay_alu instid0(VALU_DEP_2)
	v_add_f64 v[4:5], v[0:1], -2.0
	s_mov_b32 s6, 0x977da589
	s_mov_b32 s7, 0x3c833362
	;; [unrolled: 1-line block ×4, first 2 shown]
	v_cmp_nlt_f64_e32 vcc_lo, 0x40900000, v[2:3]
	s_delay_alu instid0(VALU_DEP_2) | instskip(SKIP_3) | instid1(VALU_DEP_1)
	v_fma_f64 v[6:7], v[4:5], s[8:9], s[6:7]
	s_mov_b32 s9, 0x3c545cb7
	s_mov_b32 s6, 0x721ebbb4
	;; [unrolled: 1-line block ×3, first 2 shown]
	v_fma_f64 v[8:9], v[4:5], v[6:7], s[8:9]
	s_mov_b32 s8, 0x6a5dcb37
	s_mov_b32 s9, 0x3e5ade15
	s_delay_alu instid0(VALU_DEP_1) | instskip(SKIP_2) | instid1(VALU_DEP_1)
	v_add_f64 v[8:9], v[8:9], s[6:7]
	s_mov_b32 s6, 0x93f65eba
	s_mov_b32 s7, 0x3cdee6d8
	v_fma_f64 v[6:7], v[4:5], v[8:9], -v[6:7]
	s_delay_alu instid0(VALU_DEP_1) | instskip(SKIP_2) | instid1(VALU_DEP_1)
	v_add_f64 v[6:7], v[6:7], s[6:7]
	s_mov_b32 s6, 0xc297fbeb
	s_mov_b32 s7, 0xbd0a5022
	v_fma_f64 v[8:9], v[4:5], v[6:7], -v[8:9]
	;; [unrolled: 5-line block ×20, first 2 shown]
	s_delay_alu instid0(VALU_DEP_1) | instskip(SKIP_2) | instid1(SALU_CYCLE_1)
	v_add_f64 v[8:9], v[8:9], s[6:7]
	s_mov_b32 s6, 0x652b82fe
	s_mov_b32 s7, 0x3ff71547
	v_mul_f64 v[10:11], v[2:3], s[6:7]
	s_mov_b32 s6, 0xf3dde3dd
	s_mov_b32 s7, 0x3f859961
	s_delay_alu instid0(VALU_DEP_2) | instskip(NEXT) | instid1(VALU_DEP_2)
	v_fma_f64 v[6:7], v[4:5], v[8:9], -v[6:7]
	v_rndne_f64_e32 v[10:11], v[10:11]
	s_delay_alu instid0(VALU_DEP_2)
	v_add_f64 v[6:7], v[6:7], s[6:7]
	s_mov_b32 s6, 0xfefa39ef
	s_mov_b32 s7, 0xbfe62e42
	s_delay_alu instid0(VALU_DEP_2) | instid1(SALU_CYCLE_1)
	v_fma_f64 v[12:13], v[10:11], s[6:7], v[2:3]
	s_mov_b32 s6, 0x3b39803f
	s_mov_b32 s7, 0xbc7abc9e
	s_delay_alu instid0(VALU_DEP_2) | instskip(NEXT) | instid1(VALU_DEP_2)
	v_fma_f64 v[8:9], v[4:5], v[6:7], -v[8:9]
	v_fma_f64 v[12:13], v[10:11], s[6:7], v[12:13]
	s_mov_b32 s6, 0xf121b6f0
	s_mov_b32 s7, 0xbf984e9e
	v_cvt_i32_f64_e32 v10, v[10:11]
	s_delay_alu instid0(VALU_DEP_3)
	v_add_f64 v[8:9], v[8:9], s[6:7]
	s_mov_b32 s6, 0xfca7ab0c
	s_mov_b32 s7, 0x3e928af3
	s_delay_alu instid0(VALU_DEP_3) | instid1(SALU_CYCLE_1)
	v_fma_f64 v[14:15], v[12:13], s[8:9], s[6:7]
	s_mov_b32 s6, 0x623fde64
	s_mov_b32 s7, 0x3ec71dee
	s_delay_alu instid0(VALU_DEP_2) | instskip(NEXT) | instid1(VALU_DEP_2)
	v_fma_f64 v[6:7], v[4:5], v[8:9], -v[6:7]
	v_fma_f64 v[14:15], v[12:13], v[14:15], s[6:7]
	s_mov_b32 s6, 0xcea8a32d
	s_mov_b32 s7, 0x3fa93e8a
	s_delay_alu instid0(VALU_DEP_2) | instid1(SALU_CYCLE_1)
	v_add_f64 v[6:7], v[6:7], s[6:7]
	s_mov_b32 s6, 0x7c89e6b0
	s_mov_b32 s7, 0x3efa0199
	s_delay_alu instid0(VALU_DEP_2) | instid1(SALU_CYCLE_1)
	v_fma_f64 v[14:15], v[12:13], v[14:15], s[6:7]
	s_mov_b32 s6, 0x14761f6e
	s_mov_b32 s7, 0x3f2a01a0
	s_delay_alu instid0(VALU_DEP_2) | instskip(NEXT) | instid1(VALU_DEP_2)
	v_fma_f64 v[8:9], v[4:5], v[6:7], -v[8:9]
	v_fma_f64 v[14:15], v[12:13], v[14:15], s[6:7]
	s_mov_b32 s6, 0x342d06ea
	s_mov_b32 s7, 0xbfb84b70
	s_delay_alu instid0(VALU_DEP_2) | instid1(SALU_CYCLE_1)
	v_add_f64 v[8:9], v[8:9], s[6:7]
	s_mov_b32 s6, 0x1852b7b0
	s_mov_b32 s7, 0x3f56c16c
	s_delay_alu instid0(VALU_DEP_2) | instid1(SALU_CYCLE_1)
	;; [unrolled: 13-line block ×4, first 2 shown]
	v_fma_f64 v[14:15], v[12:13], v[14:15], s[6:7]
	s_mov_b32 s6, 0x9035a22a
	s_mov_b32 s7, 0x3fe5a84e
	s_delay_alu instid0(VALU_DEP_2) | instskip(NEXT) | instid1(VALU_DEP_2)
	v_fma_f64 v[4:5], v[4:5], v[8:9], -v[6:7]
	v_fma_f64 v[8:9], v[12:13], v[14:15], 1.0
	s_delay_alu instid0(VALU_DEP_2) | instskip(NEXT) | instid1(VALU_DEP_2)
	v_add_f64 v[4:5], v[4:5], s[6:7]
	v_fma_f64 v[8:9], v[12:13], v[8:9], 1.0
	s_delay_alu instid0(VALU_DEP_2) | instskip(NEXT) | instid1(VALU_DEP_2)
	v_add_f64 v[4:5], v[4:5], -v[6:7]
	v_ldexp_f64 v[6:7], v[8:9], v10
	s_delay_alu instid0(VALU_DEP_2) | instskip(NEXT) | instid1(VALU_DEP_2)
	v_mul_f64 v[4:5], v[4:5], 0.5
	v_cndmask_b32_e32 v7, 0x7ff00000, v7, vcc_lo
	s_delay_alu instid0(VALU_DEP_3) | instskip(NEXT) | instid1(VALU_DEP_1)
	v_cndmask_b32_e32 v6, 0, v6, vcc_lo
	v_mul_f64 v[4:5], v[6:7], v[4:5]
.LBB10_56:
	s_and_not1_saveexec_b32 s5, s0
	s_cbranch_execz .LBB10_58
; %bb.57:
	v_div_scale_f64 v[4:5], null, v[2:3], v[2:3], 0x40400000
	v_div_scale_f64 v[10:11], vcc_lo, 0x40400000, v[2:3], 0x40400000
	s_mov_b32 s6, 0x66119130
	s_mov_b32 s7, 0xbc5646da
	s_mov_b32 s9, 0xbc60adb7
	s_mov_b32 s8, 0x54ca8b19
	v_cmp_nlt_f64_e64 s0, 0x40900000, v[2:3]
	s_delay_alu instid0(VALU_DEP_3) | instskip(SKIP_2) | instid1(VALU_DEP_1)
	v_rcp_f64_e32 v[6:7], v[4:5]
	s_waitcnt_depctr 0xfff
	v_fma_f64 v[8:9], -v[4:5], v[6:7], 1.0
	v_fma_f64 v[6:7], v[6:7], v[8:9], v[6:7]
	s_delay_alu instid0(VALU_DEP_1) | instskip(NEXT) | instid1(VALU_DEP_1)
	v_fma_f64 v[8:9], -v[4:5], v[6:7], 1.0
	v_fma_f64 v[6:7], v[6:7], v[8:9], v[6:7]
	s_delay_alu instid0(VALU_DEP_1) | instskip(NEXT) | instid1(VALU_DEP_1)
	v_mul_f64 v[8:9], v[10:11], v[6:7]
	v_fma_f64 v[4:5], -v[4:5], v[8:9], v[10:11]
	s_delay_alu instid0(VALU_DEP_1) | instskip(SKIP_1) | instid1(VALU_DEP_2)
	v_div_fmas_f64 v[4:5], v[4:5], v[6:7], v[8:9]
	v_cmp_gt_f64_e32 vcc_lo, 0x10000000, v[2:3]
	v_div_fixup_f64 v[4:5], v[4:5], v[2:3], 0x40400000
	v_cndmask_b32_e64 v16, 0, 1, vcc_lo
	s_delay_alu instid0(VALU_DEP_1) | instskip(NEXT) | instid1(VALU_DEP_1)
	v_lshlrev_b32_e32 v16, 8, v16
	v_ldexp_f64 v[16:17], v[2:3], v16
	s_delay_alu instid0(VALU_DEP_4) | instskip(NEXT) | instid1(VALU_DEP_2)
	v_add_f64 v[4:5], v[4:5], -2.0
	v_rsq_f64_e32 v[18:19], v[16:17]
	s_delay_alu instid0(VALU_DEP_1)
	v_fma_f64 v[6:7], v[4:5], s[8:9], s[6:7]
	s_mov_b32 s9, 0x3c60adb7
	s_mov_b32 s6, 0x12d98421
	;; [unrolled: 1-line block ×3, first 2 shown]
	s_waitcnt_depctr 0xfff
	v_mul_f64 v[20:21], v[16:17], v[18:19]
	v_mul_f64 v[18:19], v[18:19], 0.5
	v_fma_f64 v[8:9], v[4:5], v[6:7], s[8:9]
	s_mov_b32 s8, 0x6a5dcb37
	s_mov_b32 s9, 0x3e5ade15
	s_delay_alu instid0(VALU_DEP_2) | instskip(NEXT) | instid1(VALU_DEP_2)
	v_fma_f64 v[22:23], -v[18:19], v[20:21], 0.5
	v_add_f64 v[8:9], v[8:9], s[6:7]
	s_mov_b32 s6, 0x76041cd
	s_mov_b32 s7, 0x3c83f3dd
	s_delay_alu instid0(VALU_DEP_2) | instskip(SKIP_1) | instid1(VALU_DEP_3)
	v_fma_f64 v[20:21], v[20:21], v[22:23], v[20:21]
	v_fma_f64 v[18:19], v[18:19], v[22:23], v[18:19]
	v_fma_f64 v[6:7], v[4:5], v[8:9], -v[6:7]
	s_delay_alu instid0(VALU_DEP_3) | instskip(NEXT) | instid1(VALU_DEP_2)
	v_fma_f64 v[22:23], -v[20:21], v[20:21], v[16:17]
	v_add_f64 v[6:7], v[6:7], s[6:7]
	s_mov_b32 s6, 0xabd21fe4
	s_mov_b32 s7, 0xbcb4600b
	s_delay_alu instid0(VALU_DEP_1) | instskip(NEXT) | instid1(VALU_DEP_1)
	v_fma_f64 v[8:9], v[4:5], v[6:7], -v[8:9]
	v_add_f64 v[8:9], v[8:9], s[6:7]
	s_mov_b32 s6, 0xd908de38
	s_mov_b32 s7, 0xbcb8aee7
	s_delay_alu instid0(VALU_DEP_1) | instskip(NEXT) | instid1(VALU_DEP_1)
	v_fma_f64 v[6:7], v[4:5], v[8:9], -v[6:7]
	v_add_f64 v[6:7], v[6:7], s[6:7]
	s_mov_b32 s6, 0xa3eafb1f
	s_mov_b32 s7, 0x3cdfee7d
	s_delay_alu instid0(VALU_DEP_1) | instskip(NEXT) | instid1(VALU_DEP_1)
	v_fma_f64 v[8:9], v[4:5], v[6:7], -v[8:9]
	v_add_f64 v[8:9], v[8:9], s[6:7]
	s_mov_b32 s6, 0x9094e6d7
	s_mov_b32 s7, 0x3cf12a91
	s_delay_alu instid0(VALU_DEP_1) | instskip(NEXT) | instid1(VALU_DEP_1)
	v_fma_f64 v[6:7], v[4:5], v[8:9], -v[6:7]
	v_add_f64 v[6:7], v[6:7], s[6:7]
	s_mov_b32 s6, 0x7e65629a
	s_mov_b32 s7, 0xbd0583fe
	s_delay_alu instid0(VALU_DEP_1) | instskip(NEXT) | instid1(VALU_DEP_1)
	v_fma_f64 v[8:9], v[4:5], v[6:7], -v[8:9]
	v_add_f64 v[8:9], v[8:9], s[6:7]
	s_mov_b32 s6, 0xcf68bb32
	s_mov_b32 s7, 0xbd275d99
	s_delay_alu instid0(VALU_DEP_1) | instskip(NEXT) | instid1(VALU_DEP_1)
	v_fma_f64 v[6:7], v[4:5], v[8:9], -v[6:7]
	v_add_f64 v[6:7], v[6:7], s[6:7]
	s_mov_b32 s6, 0xd5fc545
	s_mov_b32 s7, 0x3d1156ff
	s_delay_alu instid0(VALU_DEP_1) | instskip(NEXT) | instid1(VALU_DEP_1)
	v_fma_f64 v[8:9], v[4:5], v[6:7], -v[8:9]
	v_add_f64 v[8:9], v[8:9], s[6:7]
	s_mov_b32 s6, 0x6b83c073
	s_mov_b32 s7, 0x3d5b1c8c
	s_delay_alu instid0(VALU_DEP_1) | instskip(NEXT) | instid1(VALU_DEP_1)
	v_fma_f64 v[6:7], v[4:5], v[8:9], -v[6:7]
	v_add_f64 v[6:7], v[6:7], s[6:7]
	s_mov_b32 s6, 0xfa268cec
	s_mov_b32 s7, 0x3d694347
	s_delay_alu instid0(VALU_DEP_1) | instskip(NEXT) | instid1(VALU_DEP_1)
	v_fma_f64 v[8:9], v[4:5], v[6:7], -v[8:9]
	v_add_f64 v[8:9], v[8:9], s[6:7]
	s_mov_b32 s6, 0x3178d66
	s_mov_b32 s7, 0xbd7f9043
	s_delay_alu instid0(VALU_DEP_1) | instskip(NEXT) | instid1(VALU_DEP_1)
	v_fma_f64 v[6:7], v[4:5], v[8:9], -v[6:7]
	v_add_f64 v[6:7], v[6:7], s[6:7]
	s_mov_b32 s6, 0x357e7bf2
	s_mov_b32 s7, 0xbdad0fd7
	s_delay_alu instid0(VALU_DEP_1) | instskip(NEXT) | instid1(VALU_DEP_1)
	v_fma_f64 v[8:9], v[4:5], v[6:7], -v[8:9]
	v_add_f64 v[8:9], v[8:9], s[6:7]
	s_mov_b32 s6, 0x8397425
	s_mov_b32 s7, 0xbdc1511d
	s_delay_alu instid0(VALU_DEP_1) | instskip(NEXT) | instid1(VALU_DEP_1)
	v_fma_f64 v[6:7], v[4:5], v[8:9], -v[6:7]
	v_add_f64 v[6:7], v[6:7], s[6:7]
	s_mov_b32 s6, 0xabe8004f
	s_mov_b32 s7, 0x3daa24fe
	s_delay_alu instid0(VALU_DEP_1) | instskip(NEXT) | instid1(VALU_DEP_1)
	v_fma_f64 v[8:9], v[4:5], v[6:7], -v[8:9]
	v_add_f64 v[8:9], v[8:9], s[6:7]
	s_mov_b32 s6, 0xc0f46f75
	s_mov_b32 s7, 0x3e00f9cc
	s_delay_alu instid0(VALU_DEP_1) | instskip(NEXT) | instid1(VALU_DEP_1)
	v_fma_f64 v[6:7], v[4:5], v[8:9], -v[6:7]
	v_add_f64 v[6:7], v[6:7], s[6:7]
	s_mov_b32 s6, 0x652b82fe
	s_mov_b32 s7, 0x3ff71547
	s_delay_alu instid0(SALU_CYCLE_1) | instskip(SKIP_2) | instid1(VALU_DEP_2)
	v_mul_f64 v[10:11], v[2:3], s[6:7]
	s_mov_b32 s6, 0xa9225b87
	s_mov_b32 s7, 0x3e2d2c64
	v_fma_f64 v[8:9], v[4:5], v[6:7], -v[8:9]
	s_delay_alu instid0(VALU_DEP_2) | instskip(NEXT) | instid1(VALU_DEP_2)
	v_rndne_f64_e32 v[10:11], v[10:11]
	v_add_f64 v[8:9], v[8:9], s[6:7]
	s_mov_b32 s6, 0xfefa39ef
	s_mov_b32 s7, 0xbfe62e42
	s_delay_alu instid0(VALU_DEP_2) | instid1(SALU_CYCLE_1)
	v_fma_f64 v[12:13], v[10:11], s[6:7], v[2:3]
	s_mov_b32 s6, 0x3b39803f
	s_mov_b32 s7, 0xbc7abc9e
	s_delay_alu instid0(VALU_DEP_2) | instskip(NEXT) | instid1(VALU_DEP_2)
	v_fma_f64 v[6:7], v[4:5], v[8:9], -v[6:7]
	v_fma_f64 v[12:13], v[10:11], s[6:7], v[12:13]
	s_mov_b32 s6, 0x80d6d56d
	s_mov_b32 s7, 0x3e585692
	s_delay_alu instid0(VALU_DEP_2) | instid1(SALU_CYCLE_1)
	v_add_f64 v[6:7], v[6:7], s[6:7]
	s_mov_b32 s6, 0xfca7ab0c
	s_mov_b32 s7, 0x3e928af3
	s_delay_alu instid0(VALU_DEP_2) | instid1(SALU_CYCLE_1)
	v_fma_f64 v[14:15], v[12:13], s[8:9], s[6:7]
	s_mov_b32 s6, 0x623fde64
	s_mov_b32 s7, 0x3ec71dee
	s_delay_alu instid0(VALU_DEP_2) | instskip(NEXT) | instid1(VALU_DEP_2)
	v_fma_f64 v[8:9], v[4:5], v[6:7], -v[8:9]
	v_fma_f64 v[14:15], v[12:13], v[14:15], s[6:7]
	s_mov_b32 s6, 0xd9cd616e
	s_mov_b32 s7, 0x3e8b8007
	s_delay_alu instid0(VALU_DEP_2) | instid1(SALU_CYCLE_1)
	;; [unrolled: 13-line block ×5, first 2 shown]
	v_add_f64 v[6:7], v[6:7], s[6:7]
	s_mov_b32 s6, 11
	s_mov_b32 s7, 0x3fe00000
	s_delay_alu instid0(VALU_DEP_2) | instid1(SALU_CYCLE_1)
	v_fma_f64 v[14:15], v[12:13], v[14:15], s[6:7]
	s_mov_b32 s6, 0xaca809cb
	s_mov_b32 s7, 0x3fe9be62
	s_delay_alu instid0(VALU_DEP_2) | instskip(SKIP_2) | instid1(VALU_DEP_4)
	v_fma_f64 v[4:5], v[4:5], v[6:7], -v[8:9]
	v_fma_f64 v[6:7], v[22:23], v[18:19], v[20:21]
	v_cvt_i32_f64_e32 v20, v[10:11]
	v_fma_f64 v[14:15], v[12:13], v[14:15], 1.0
	s_delay_alu instid0(VALU_DEP_4) | instskip(NEXT) | instid1(VALU_DEP_4)
	v_add_f64 v[4:5], v[4:5], s[6:7]
	v_fma_f64 v[10:11], -v[6:7], v[6:7], v[16:17]
	s_delay_alu instid0(VALU_DEP_3) | instskip(NEXT) | instid1(VALU_DEP_3)
	v_fma_f64 v[12:13], v[12:13], v[14:15], 1.0
	v_add_f64 v[4:5], v[4:5], -v[8:9]
	s_delay_alu instid0(VALU_DEP_3) | instskip(SKIP_4) | instid1(VALU_DEP_4)
	v_fma_f64 v[6:7], v[10:11], v[18:19], v[6:7]
	v_cndmask_b32_e64 v10, 0, 0xffffff80, vcc_lo
	v_cmp_class_f64_e64 vcc_lo, v[16:17], 0x260
	v_ldexp_f64 v[8:9], v[12:13], v20
	v_mul_f64 v[4:5], v[4:5], 0.5
	v_ldexp_f64 v[6:7], v[6:7], v10
	s_delay_alu instid0(VALU_DEP_3) | instskip(NEXT) | instid1(VALU_DEP_4)
	v_cndmask_b32_e64 v9, 0x7ff00000, v9, s0
	v_cndmask_b32_e64 v8, 0, v8, s0
	s_delay_alu instid0(VALU_DEP_1) | instskip(NEXT) | instid1(VALU_DEP_4)
	v_mul_f64 v[4:5], v[8:9], v[4:5]
	v_dual_cndmask_b32 v7, v7, v17 :: v_dual_cndmask_b32 v6, v6, v16
	s_delay_alu instid0(VALU_DEP_1) | instskip(NEXT) | instid1(VALU_DEP_1)
	v_div_scale_f64 v[8:9], null, v[6:7], v[6:7], v[4:5]
	v_rcp_f64_e32 v[10:11], v[8:9]
	s_waitcnt_depctr 0xfff
	v_fma_f64 v[12:13], -v[8:9], v[10:11], 1.0
	s_delay_alu instid0(VALU_DEP_1) | instskip(NEXT) | instid1(VALU_DEP_1)
	v_fma_f64 v[10:11], v[10:11], v[12:13], v[10:11]
	v_fma_f64 v[12:13], -v[8:9], v[10:11], 1.0
	s_delay_alu instid0(VALU_DEP_1) | instskip(SKIP_1) | instid1(VALU_DEP_1)
	v_fma_f64 v[10:11], v[10:11], v[12:13], v[10:11]
	v_div_scale_f64 v[12:13], vcc_lo, v[4:5], v[6:7], v[4:5]
	v_mul_f64 v[14:15], v[12:13], v[10:11]
	s_delay_alu instid0(VALU_DEP_1) | instskip(NEXT) | instid1(VALU_DEP_1)
	v_fma_f64 v[8:9], -v[8:9], v[14:15], v[12:13]
	v_div_fmas_f64 v[8:9], v[8:9], v[10:11], v[14:15]
	s_delay_alu instid0(VALU_DEP_1)
	v_div_fixup_f64 v[4:5], v[8:9], v[6:7], v[4:5]
.LBB10_58:
	s_or_b32 exec_lo, exec_lo, s5
	s_delay_alu instid0(VALU_DEP_2)
	v_frexp_mant_f64_e32 v[6:7], v[0:1]
	s_mov_b32 s7, 0x3fe55555
	s_mov_b32 s6, 0x55555555
	v_mov_b32_e32 v8, 0
	s_mov_b32 s8, 0x6b47b09a
	s_mov_b32 s10, 0xbf559e2b
	;; [unrolled: 1-line block ×4, first 2 shown]
	v_fma_f64 v[2:3], v[2:3], v[2:3], -2.0
	s_delay_alu instid0(VALU_DEP_3) | instskip(SKIP_2) | instid1(VALU_DEP_1)
	v_cmp_gt_f64_e32 vcc_lo, s[6:7], v[6:7]
	s_mov_b32 s6, 0x55555780
	v_cndmask_b32_e64 v9, 0x3ff00000, 2.0, vcc_lo
	v_mul_f64 v[6:7], v[6:7], v[8:9]
	s_delay_alu instid0(VALU_DEP_1) | instskip(SKIP_1) | instid1(VALU_DEP_2)
	v_add_f64 v[8:9], v[6:7], 1.0
	v_add_f64 v[14:15], v[6:7], -1.0
	v_rcp_f64_e32 v[10:11], v[8:9]
	v_add_f64 v[16:17], v[8:9], -1.0
	s_delay_alu instid0(VALU_DEP_1) | instskip(SKIP_2) | instid1(VALU_DEP_1)
	v_add_f64 v[6:7], v[6:7], -v[16:17]
	s_waitcnt_depctr 0xfff
	v_fma_f64 v[12:13], -v[8:9], v[10:11], 1.0
	v_fma_f64 v[10:11], v[12:13], v[10:11], v[10:11]
	s_delay_alu instid0(VALU_DEP_1) | instskip(NEXT) | instid1(VALU_DEP_1)
	v_fma_f64 v[12:13], -v[8:9], v[10:11], 1.0
	v_fma_f64 v[10:11], v[12:13], v[10:11], v[10:11]
	s_delay_alu instid0(VALU_DEP_1) | instskip(NEXT) | instid1(VALU_DEP_1)
	v_mul_f64 v[12:13], v[14:15], v[10:11]
	v_mul_f64 v[18:19], v[8:9], v[12:13]
	s_delay_alu instid0(VALU_DEP_1) | instskip(NEXT) | instid1(VALU_DEP_1)
	v_fma_f64 v[8:9], v[12:13], v[8:9], -v[18:19]
	v_fma_f64 v[6:7], v[12:13], v[6:7], v[8:9]
	s_delay_alu instid0(VALU_DEP_1) | instskip(NEXT) | instid1(VALU_DEP_1)
	v_add_f64 v[8:9], v[18:19], v[6:7]
	v_add_f64 v[16:17], v[14:15], -v[8:9]
	v_add_f64 v[18:19], v[8:9], -v[18:19]
	s_delay_alu instid0(VALU_DEP_2) | instskip(NEXT) | instid1(VALU_DEP_2)
	v_add_f64 v[14:15], v[14:15], -v[16:17]
	v_add_f64 v[6:7], v[18:19], -v[6:7]
	v_frexp_exp_i32_f64_e32 v18, v[0:1]
	s_delay_alu instid0(VALU_DEP_3) | instskip(NEXT) | instid1(VALU_DEP_1)
	v_add_f64 v[8:9], v[14:15], -v[8:9]
	v_add_f64 v[6:7], v[6:7], v[8:9]
	s_delay_alu instid0(VALU_DEP_1) | instskip(NEXT) | instid1(VALU_DEP_1)
	v_add_f64 v[6:7], v[16:17], v[6:7]
	v_mul_f64 v[6:7], v[10:11], v[6:7]
	s_delay_alu instid0(VALU_DEP_1) | instskip(NEXT) | instid1(VALU_DEP_1)
	v_add_f64 v[8:9], v[12:13], v[6:7]
	v_mul_f64 v[10:11], v[8:9], v[8:9]
	s_delay_alu instid0(VALU_DEP_1) | instskip(SKIP_3) | instid1(VALU_DEP_2)
	v_fma_f64 v[14:15], v[10:11], s[10:11], s[8:9]
	s_mov_b32 s8, 0xd7f4df2e
	s_mov_b32 s9, 0x3fc7474d
	v_mul_f64 v[16:17], v[8:9], v[10:11]
	v_fma_f64 v[14:15], v[10:11], v[14:15], s[8:9]
	s_mov_b32 s8, 0x16291751
	s_mov_b32 s9, 0x3fcc71c0
	s_delay_alu instid0(VALU_DEP_1) | instid1(SALU_CYCLE_1)
	v_fma_f64 v[14:15], v[10:11], v[14:15], s[8:9]
	s_mov_b32 s8, 0x9b27acf1
	s_mov_b32 s9, 0x3fd24924
	s_delay_alu instid0(VALU_DEP_1) | instid1(SALU_CYCLE_1)
	;; [unrolled: 4-line block ×3, first 2 shown]
	v_fma_f64 v[14:15], v[10:11], v[14:15], s[8:9]
	s_mov_b32 s9, 0x3ca3cee1
	s_mov_b32 s8, 0xe6a7fd77
	s_delay_alu instid0(VALU_DEP_1) | instskip(SKIP_4) | instid1(VALU_DEP_3)
	v_fma_f64 v[10:11], v[10:11], v[14:15], s[6:7]
	v_ldexp_f64 v[14:15], v[8:9], 1
	v_add_f64 v[8:9], v[8:9], -v[12:13]
	s_mov_b32 s6, 0xc384c2aa
	s_mov_b32 s7, 0x3d27fb0a
	v_mul_f64 v[10:11], v[16:17], v[10:11]
	v_subrev_co_ci_u32_e32 v16, vcc_lo, 0, v18, vcc_lo
	v_fma_f64 v[18:19], v[2:3], s[8:9], s[6:7]
	s_mov_b32 s6, 0xfefa39ef
	s_mov_b32 s7, 0x3fe62e42
	s_delay_alu instid0(VALU_DEP_2) | instskip(SKIP_4) | instid1(VALU_DEP_4)
	v_cvt_f64_i32_e32 v[16:17], v16
	v_add_f64 v[6:7], v[6:7], -v[8:9]
	s_mov_b32 s9, 0xbca3cee1
	v_cmp_eq_f64_e32 vcc_lo, 0x7ff00000, v[0:1]
	v_add_f64 v[12:13], v[14:15], v[10:11]
	v_mul_f64 v[20:21], v[16:17], s[6:7]
	s_delay_alu instid0(VALU_DEP_4) | instskip(NEXT) | instid1(VALU_DEP_3)
	v_ldexp_f64 v[6:7], v[6:7], 1
	v_add_f64 v[8:9], v[12:13], -v[14:15]
	v_fma_f64 v[14:15], v[2:3], v[18:19], s[8:9]
	s_delay_alu instid0(VALU_DEP_4) | instskip(SKIP_2) | instid1(VALU_DEP_3)
	v_fma_f64 v[22:23], v[16:17], s[6:7], -v[20:21]
	s_mov_b32 s6, 0x47512144
	s_mov_b32 s7, 0x3da6c25c
	v_add_f64 v[8:9], v[10:11], -v[8:9]
	s_delay_alu instid0(VALU_DEP_3)
	v_add_f64 v[10:11], v[14:15], s[6:7]
	s_mov_b32 s6, 0x3b39803f
	s_mov_b32 s7, 0x3c7abc9e
	s_delay_alu instid0(VALU_DEP_3) | instid1(SALU_CYCLE_1)
	v_fma_f64 v[14:15], v[16:17], s[6:7], v[22:23]
	s_mov_b32 s6, 0x67e58a13
	s_mov_b32 s7, 0x3e205c13
	s_delay_alu instid0(VALU_DEP_3) | instskip(NEXT) | instid1(VALU_DEP_3)
	v_add_f64 v[6:7], v[6:7], v[8:9]
	v_fma_f64 v[8:9], v[2:3], v[10:11], -v[18:19]
	s_delay_alu instid0(VALU_DEP_3) | instskip(NEXT) | instid1(VALU_DEP_3)
	v_add_f64 v[16:17], v[20:21], v[14:15]
	v_add_f64 v[18:19], v[12:13], v[6:7]
	s_delay_alu instid0(VALU_DEP_3) | instskip(SKIP_2) | instid1(VALU_DEP_3)
	v_add_f64 v[8:9], v[8:9], s[6:7]
	s_mov_b32 s6, 0xe7f95efc
	s_mov_b32 s7, 0x3e9102bc
	v_add_f64 v[20:21], v[16:17], -v[20:21]
	s_delay_alu instid0(VALU_DEP_3) | instskip(NEXT) | instid1(VALU_DEP_3)
	v_add_f64 v[22:23], v[16:17], v[18:19]
	v_fma_f64 v[10:11], v[2:3], v[8:9], -v[10:11]
	v_add_f64 v[12:13], v[18:19], -v[12:13]
	s_delay_alu instid0(VALU_DEP_4) | instskip(NEXT) | instid1(VALU_DEP_4)
	v_add_f64 v[14:15], v[14:15], -v[20:21]
	v_add_f64 v[24:25], v[22:23], -v[16:17]
	s_delay_alu instid0(VALU_DEP_4) | instskip(NEXT) | instid1(VALU_DEP_4)
	v_add_f64 v[10:11], v[10:11], s[6:7]
	v_add_f64 v[6:7], v[6:7], -v[12:13]
	s_mov_b32 s6, 0xfe8cfca0
	s_mov_b32 s7, 0x3ef7f900
	s_delay_alu instid0(VALU_DEP_3) | instskip(NEXT) | instid1(VALU_DEP_3)
	v_add_f64 v[26:27], v[22:23], -v[24:25]
	v_fma_f64 v[8:9], v[2:3], v[10:11], -v[8:9]
	v_add_f64 v[12:13], v[18:19], -v[24:25]
	s_delay_alu instid0(VALU_DEP_4) | instskip(NEXT) | instid1(VALU_DEP_4)
	v_add_f64 v[18:19], v[14:15], v[6:7]
	v_add_f64 v[16:17], v[16:17], -v[26:27]
	s_delay_alu instid0(VALU_DEP_4) | instskip(SKIP_2) | instid1(VALU_DEP_2)
	v_add_f64 v[8:9], v[8:9], s[6:7]
	s_mov_b32 s6, 0x75633d73
	s_mov_b32 s7, 0x3f54b82e
	v_add_f64 v[12:13], v[12:13], v[16:17]
	s_delay_alu instid0(VALU_DEP_2) | instskip(SKIP_1) | instid1(VALU_DEP_3)
	v_fma_f64 v[10:11], v[2:3], v[8:9], -v[10:11]
	v_add_f64 v[16:17], v[18:19], -v[14:15]
	v_add_f64 v[12:13], v[18:19], v[12:13]
	s_delay_alu instid0(VALU_DEP_3) | instskip(NEXT) | instid1(VALU_DEP_3)
	v_add_f64 v[10:11], v[10:11], s[6:7]
	v_add_f64 v[18:19], v[18:19], -v[16:17]
	v_add_f64 v[6:7], v[6:7], -v[16:17]
	s_mov_b32 s6, 0x554a9085
	s_mov_b32 s7, 0x3fa26bf6
	s_delay_alu instid0(VALU_DEP_4) | instskip(NEXT) | instid1(VALU_DEP_4)
	v_add_f64 v[20:21], v[22:23], v[12:13]
	v_fma_f64 v[8:9], v[2:3], v[10:11], -v[8:9]
	s_delay_alu instid0(VALU_DEP_4) | instskip(NEXT) | instid1(VALU_DEP_3)
	v_add_f64 v[14:15], v[14:15], -v[18:19]
	v_add_f64 v[16:17], v[20:21], -v[22:23]
	s_delay_alu instid0(VALU_DEP_3) | instskip(NEXT) | instid1(VALU_DEP_3)
	v_add_f64 v[8:9], v[8:9], s[6:7]
	v_add_f64 v[6:7], v[6:7], v[14:15]
	s_mov_b32 s6, 0x81213db9
	s_mov_b32 s7, 0x3fd608d8
	s_delay_alu instid0(VALU_DEP_3) | instskip(NEXT) | instid1(VALU_DEP_3)
	v_add_f64 v[12:13], v[12:13], -v[16:17]
	v_fma_f64 v[10:11], v[2:3], v[8:9], -v[10:11]
	s_delay_alu instid0(VALU_DEP_2) | instskip(NEXT) | instid1(VALU_DEP_2)
	v_add_f64 v[6:7], v[6:7], v[12:13]
	v_add_f64 v[10:11], v[10:11], s[6:7]
	s_mov_b32 s6, 0xe9d2f61f
	s_mov_b32 s7, 0xbfe12166
	s_delay_alu instid0(VALU_DEP_2) | instskip(NEXT) | instid1(VALU_DEP_2)
	v_add_f64 v[6:7], v[20:21], v[6:7]
	v_fma_f64 v[2:3], v[2:3], v[10:11], -v[8:9]
	s_delay_alu instid0(VALU_DEP_2) | instskip(SKIP_1) | instid1(VALU_DEP_3)
	v_dual_cndmask_b32 v7, v7, v1 :: v_dual_cndmask_b32 v6, v6, v0
	v_cmp_neq_f64_e32 vcc_lo, 0, v[0:1]
	v_add_f64 v[0:1], v[2:3], s[6:7]
	s_delay_alu instid0(VALU_DEP_3) | instskip(NEXT) | instid1(VALU_DEP_4)
	v_cndmask_b32_e32 v3, 0xfff00000, v7, vcc_lo
	v_cndmask_b32_e32 v2, 0, v6, vcc_lo
	s_delay_alu instid0(VALU_DEP_3) | instskip(NEXT) | instid1(VALU_DEP_2)
	v_add_f64 v[0:1], v[0:1], -v[8:9]
	v_mul_f64 v[2:3], v[2:3], v[4:5]
	s_delay_alu instid0(VALU_DEP_1)
	v_fma_f64 v[0:1], v[0:1], 0.5, -v[2:3]
                                        ; implicit-def: $vgpr2_vgpr3
.LBB10_59:
	s_and_not1_saveexec_b32 s4, s4
	s_cbranch_execz .LBB10_61
; %bb.60:
	v_div_scale_f64 v[0:1], null, v[2:3], v[2:3], 0x40200000
	v_div_scale_f64 v[8:9], vcc_lo, 0x40200000, v[2:3], 0x40200000
	s_mov_b32 s6, 0x93812603
	s_mov_b32 s7, 0xbc72fecc
	;; [unrolled: 1-line block ×4, first 2 shown]
	v_cmp_nlt_f64_e64 s0, 0x4090cc00, v[2:3]
	s_delay_alu instid0(VALU_DEP_3) | instskip(SKIP_2) | instid1(VALU_DEP_1)
	v_rcp_f64_e32 v[4:5], v[0:1]
	s_waitcnt_depctr 0xfff
	v_fma_f64 v[6:7], -v[0:1], v[4:5], 1.0
	v_fma_f64 v[4:5], v[4:5], v[6:7], v[4:5]
	s_delay_alu instid0(VALU_DEP_1) | instskip(NEXT) | instid1(VALU_DEP_1)
	v_fma_f64 v[6:7], -v[0:1], v[4:5], 1.0
	v_fma_f64 v[4:5], v[4:5], v[6:7], v[4:5]
	s_delay_alu instid0(VALU_DEP_1) | instskip(NEXT) | instid1(VALU_DEP_1)
	v_mul_f64 v[6:7], v[8:9], v[4:5]
	v_fma_f64 v[0:1], -v[0:1], v[6:7], v[8:9]
	s_delay_alu instid0(VALU_DEP_1) | instskip(SKIP_1) | instid1(VALU_DEP_2)
	v_div_fmas_f64 v[0:1], v[0:1], v[4:5], v[6:7]
	v_cmp_gt_f64_e32 vcc_lo, 0x10000000, v[2:3]
	v_div_fixup_f64 v[0:1], v[0:1], v[2:3], 0x40200000
	v_cndmask_b32_e64 v14, 0, 1, vcc_lo
	s_delay_alu instid0(VALU_DEP_1) | instskip(NEXT) | instid1(VALU_DEP_1)
	v_lshlrev_b32_e32 v14, 8, v14
	v_ldexp_f64 v[14:15], v[2:3], v14
	s_delay_alu instid0(VALU_DEP_4) | instskip(NEXT) | instid1(VALU_DEP_2)
	v_add_f64 v[0:1], v[0:1], -2.0
	v_rsq_f64_e32 v[16:17], v[14:15]
	s_delay_alu instid0(VALU_DEP_1)
	v_fma_f64 v[4:5], v[0:1], s[8:9], s[6:7]
	s_mov_b32 s9, 0xbc5871a5
	s_mov_b32 s6, 0x41a8cdf4
	;; [unrolled: 1-line block ×3, first 2 shown]
	s_waitcnt_depctr 0xfff
	v_mul_f64 v[18:19], v[14:15], v[16:17]
	v_mul_f64 v[16:17], v[16:17], 0.5
	v_fma_f64 v[6:7], v[0:1], v[4:5], s[8:9]
	s_mov_b32 s8, 0x6a5dcb37
	s_mov_b32 s9, 0x3e5ade15
	s_delay_alu instid0(VALU_DEP_2) | instskip(NEXT) | instid1(VALU_DEP_2)
	v_fma_f64 v[20:21], -v[16:17], v[18:19], 0.5
	v_add_f64 v[6:7], v[6:7], s[6:7]
	s_mov_b32 s6, 0x74d77641
	s_mov_b32 s7, 0xbca82f94
	s_delay_alu instid0(VALU_DEP_2) | instskip(SKIP_1) | instid1(VALU_DEP_3)
	v_fma_f64 v[18:19], v[18:19], v[20:21], v[18:19]
	v_fma_f64 v[16:17], v[16:17], v[20:21], v[16:17]
	v_fma_f64 v[4:5], v[0:1], v[6:7], -v[4:5]
	s_delay_alu instid0(VALU_DEP_3) | instskip(NEXT) | instid1(VALU_DEP_2)
	v_fma_f64 v[20:21], -v[18:19], v[18:19], v[14:15]
	v_add_f64 v[4:5], v[4:5], s[6:7]
	s_mov_b32 s6, 0x6b94785b
	s_mov_b32 s7, 0x3cc3dbf9
	s_delay_alu instid0(VALU_DEP_1) | instskip(NEXT) | instid1(VALU_DEP_1)
	v_fma_f64 v[6:7], v[0:1], v[4:5], -v[6:7]
	v_add_f64 v[6:7], v[6:7], s[6:7]
	s_mov_b32 s6, 0xecfadd36
	s_mov_b32 s7, 0xbce0a690
	s_delay_alu instid0(VALU_DEP_1) | instskip(NEXT) | instid1(VALU_DEP_1)
	v_fma_f64 v[4:5], v[0:1], v[6:7], -v[4:5]
	;; [unrolled: 5-line block ×14, first 2 shown]
	v_add_f64 v[4:5], v[4:5], s[6:7]
	s_mov_b32 s6, 0x652b82fe
	s_mov_b32 s7, 0xbff71547
	s_delay_alu instid0(SALU_CYCLE_1) | instskip(SKIP_2) | instid1(VALU_DEP_2)
	v_mul_f64 v[8:9], v[2:3], s[6:7]
	s_mov_b32 s6, 0x81e3e46f
	s_mov_b32 s7, 0x3e929159
	v_fma_f64 v[6:7], v[0:1], v[4:5], -v[6:7]
	s_delay_alu instid0(VALU_DEP_2) | instskip(NEXT) | instid1(VALU_DEP_2)
	v_rndne_f64_e32 v[8:9], v[8:9]
	v_add_f64 v[6:7], v[6:7], s[6:7]
	s_mov_b32 s6, 0xfefa39ef
	s_mov_b32 s7, 0xbfe62e42
	s_delay_alu instid0(VALU_DEP_2) | instid1(SALU_CYCLE_1)
	v_fma_f64 v[10:11], v[8:9], s[6:7], -v[2:3]
	s_mov_b32 s6, 0x3b39803f
	s_mov_b32 s7, 0xbc7abc9e
	v_cndmask_b32_e64 v2, 0, 0xffffff80, vcc_lo
	v_cmp_class_f64_e64 vcc_lo, v[14:15], 0x260
	s_delay_alu instid0(VALU_DEP_4) | instskip(NEXT) | instid1(VALU_DEP_4)
	v_fma_f64 v[4:5], v[0:1], v[6:7], -v[4:5]
	v_fma_f64 v[10:11], v[8:9], s[6:7], v[10:11]
	s_mov_b32 s6, 0x7f18d3a9
	s_mov_b32 s7, 0xbebebb54
	s_delay_alu instid0(VALU_DEP_2) | instid1(SALU_CYCLE_1)
	v_add_f64 v[4:5], v[4:5], s[6:7]
	s_mov_b32 s6, 0xfca7ab0c
	s_mov_b32 s7, 0x3e928af3
	s_delay_alu instid0(VALU_DEP_2) | instid1(SALU_CYCLE_1)
	v_fma_f64 v[12:13], v[10:11], s[8:9], s[6:7]
	s_mov_b32 s6, 0x623fde64
	s_mov_b32 s7, 0x3ec71dee
	s_delay_alu instid0(VALU_DEP_2) | instskip(NEXT) | instid1(VALU_DEP_2)
	v_fma_f64 v[6:7], v[0:1], v[4:5], -v[6:7]
	v_fma_f64 v[12:13], v[10:11], v[12:13], s[6:7]
	s_mov_b32 s6, 0xcc7470a9
	s_mov_b32 s7, 0x3eed413f
	s_delay_alu instid0(VALU_DEP_2) | instid1(SALU_CYCLE_1)
	v_add_f64 v[6:7], v[6:7], s[6:7]
	s_mov_b32 s6, 0x7c89e6b0
	s_mov_b32 s7, 0x3efa0199
	s_delay_alu instid0(VALU_DEP_2) | instid1(SALU_CYCLE_1)
	v_fma_f64 v[12:13], v[10:11], v[12:13], s[6:7]
	s_mov_b32 s6, 0x14761f6e
	s_mov_b32 s7, 0x3f2a01a0
	s_delay_alu instid0(VALU_DEP_2) | instskip(NEXT) | instid1(VALU_DEP_2)
	;; [unrolled: 13-line block ×4, first 2 shown]
	v_fma_f64 v[4:5], v[0:1], v[6:7], -v[4:5]
	v_fma_f64 v[12:13], v[10:11], v[12:13], s[6:7]
	s_mov_b32 s6, 0x2d4ff71e
	s_mov_b32 s7, 0xbfa019f7
	s_delay_alu instid0(VALU_DEP_2) | instid1(SALU_CYCLE_1)
	v_add_f64 v[4:5], v[4:5], s[6:7]
	s_mov_b32 s6, 11
	s_mov_b32 s7, 0x3fe00000
	s_delay_alu instid0(VALU_DEP_2) | instid1(SALU_CYCLE_1)
	v_fma_f64 v[12:13], v[10:11], v[12:13], s[6:7]
	s_mov_b32 s6, 0x9f4e6907
	s_mov_b32 s7, 0x400385bd
	s_delay_alu instid0(VALU_DEP_2) | instskip(SKIP_2) | instid1(VALU_DEP_4)
	v_fma_f64 v[0:1], v[0:1], v[4:5], -v[6:7]
	v_fma_f64 v[4:5], v[20:21], v[16:17], v[18:19]
	v_cvt_i32_f64_e32 v18, v[8:9]
	v_fma_f64 v[12:13], v[10:11], v[12:13], 1.0
	s_delay_alu instid0(VALU_DEP_4) | instskip(NEXT) | instid1(VALU_DEP_4)
	v_add_f64 v[0:1], v[0:1], s[6:7]
	v_fma_f64 v[8:9], -v[4:5], v[4:5], v[14:15]
	s_delay_alu instid0(VALU_DEP_3) | instskip(NEXT) | instid1(VALU_DEP_3)
	v_fma_f64 v[10:11], v[10:11], v[12:13], 1.0
	v_add_f64 v[0:1], v[0:1], -v[6:7]
	s_delay_alu instid0(VALU_DEP_3) | instskip(NEXT) | instid1(VALU_DEP_3)
	v_fma_f64 v[4:5], v[8:9], v[16:17], v[4:5]
	v_ldexp_f64 v[6:7], v[10:11], v18
	s_delay_alu instid0(VALU_DEP_3) | instskip(NEXT) | instid1(VALU_DEP_3)
	v_mul_f64 v[0:1], v[0:1], 0.5
	v_ldexp_f64 v[2:3], v[4:5], v2
	s_delay_alu instid0(VALU_DEP_3) | instskip(NEXT) | instid1(VALU_DEP_4)
	v_cndmask_b32_e64 v5, 0, v7, s0
	v_cndmask_b32_e64 v4, 0, v6, s0
	s_delay_alu instid0(VALU_DEP_1) | instskip(NEXT) | instid1(VALU_DEP_4)
	v_mul_f64 v[0:1], v[4:5], v[0:1]
	v_dual_cndmask_b32 v3, v3, v15 :: v_dual_cndmask_b32 v2, v2, v14
	s_delay_alu instid0(VALU_DEP_1) | instskip(NEXT) | instid1(VALU_DEP_1)
	v_div_scale_f64 v[4:5], null, v[2:3], v[2:3], v[0:1]
	v_rcp_f64_e32 v[6:7], v[4:5]
	s_waitcnt_depctr 0xfff
	v_fma_f64 v[8:9], -v[4:5], v[6:7], 1.0
	s_delay_alu instid0(VALU_DEP_1) | instskip(NEXT) | instid1(VALU_DEP_1)
	v_fma_f64 v[6:7], v[6:7], v[8:9], v[6:7]
	v_fma_f64 v[8:9], -v[4:5], v[6:7], 1.0
	s_delay_alu instid0(VALU_DEP_1) | instskip(SKIP_1) | instid1(VALU_DEP_1)
	v_fma_f64 v[6:7], v[6:7], v[8:9], v[6:7]
	v_div_scale_f64 v[8:9], vcc_lo, v[0:1], v[2:3], v[0:1]
	v_mul_f64 v[10:11], v[8:9], v[6:7]
	s_delay_alu instid0(VALU_DEP_1) | instskip(NEXT) | instid1(VALU_DEP_1)
	v_fma_f64 v[4:5], -v[4:5], v[10:11], v[8:9]
	v_div_fmas_f64 v[4:5], v[4:5], v[6:7], v[10:11]
	s_delay_alu instid0(VALU_DEP_1)
	v_div_fixup_f64 v[0:1], v[4:5], v[2:3], v[0:1]
.LBB10_61:
	s_or_b32 exec_lo, exec_lo, s4
.LBB10_62:
	s_delay_alu instid0(SALU_CYCLE_1)
	s_or_b32 exec_lo, exec_lo, s3
.LBB10_63:
	s_delay_alu instid0(SALU_CYCLE_1) | instskip(NEXT) | instid1(SALU_CYCLE_1)
	s_or_b32 exec_lo, exec_lo, s2
	s_or_b32 exec_lo, exec_lo, s1
	s_setpc_b64 s[30:31]
.LBB10_64:
	s_mov_b32 s0, exec_lo
                                        ; implicit-def: $vgpr2_vgpr3
	v_cmpx_lt_i16_e32 28, v4
	s_xor_b32 s0, exec_lo, s0
	s_cbranch_execz .LBB10_80
; %bb.65:
	s_mov_b32 s7, 0
	s_mov_b32 s1, exec_lo
                                        ; implicit-def: $vgpr2_vgpr3
	v_cmpx_lt_i16_e32 43, v4
	s_xor_b32 s1, exec_lo, s1
	s_cbranch_execz .LBB10_75
; %bb.66:
	s_mov_b32 s7, exec_lo
                                        ; implicit-def: $vgpr2_vgpr3
	v_cmpx_lt_i16_e32 45, v4
	s_xor_b32 s7, exec_lo, s7
	s_cbranch_execz .LBB10_70
; %bb.67:
	s_mov_b32 s8, -1
	s_mov_b32 s6, exec_lo
                                        ; implicit-def: $vgpr2_vgpr3
	v_cmpx_eq_u16_e32 46, v4
	s_cbranch_execz .LBB10_69
; %bb.68:
	flat_load_b32 v2, v[0:1]
	s_mov_b32 s4, exec_lo
	s_xor_b32 s8, exec_lo, -1
	s_waitcnt vmcnt(0) lgkmcnt(0)
	v_lshlrev_b32_e32 v2, 16, v2
	s_delay_alu instid0(VALU_DEP_1)
	v_cvt_f64_f32_e32 v[2:3], v2
.LBB10_69:
	s_or_b32 exec_lo, exec_lo, s6
	s_delay_alu instid0(SALU_CYCLE_1)
	s_and_b32 s6, s4, exec_lo
	s_and_b32 s4, s8, exec_lo
                                        ; implicit-def: $vgpr4
.LBB10_70:
	s_and_not1_saveexec_b32 s7, s7
	s_cbranch_execz .LBB10_74
; %bb.71:
	s_mov_b32 s9, -1
	s_mov_b32 s10, s6
	s_mov_b32 s8, exec_lo
                                        ; implicit-def: $vgpr2_vgpr3
	v_cmpx_eq_u16_e32 44, v4
	s_cbranch_execz .LBB10_73
; %bb.72:
	flat_load_u8 v4, v[0:1]
	s_or_b32 s10, s6, exec_lo
	s_xor_b32 s9, exec_lo, -1
	s_waitcnt vmcnt(0) lgkmcnt(0)
	v_cmp_ne_u32_e32 vcc_lo, 0xff, v4
	v_lshlrev_b32_e32 v2, 23, v4
	s_delay_alu instid0(VALU_DEP_1) | instskip(NEXT) | instid1(VALU_DEP_1)
	v_cvt_f64_f32_e32 v[2:3], v2
	v_cndmask_b32_e32 v3, 0x7ff80000, v3, vcc_lo
	s_delay_alu instid0(VALU_DEP_2) | instskip(SKIP_1) | instid1(VALU_DEP_3)
	v_cndmask_b32_e32 v2, 0x20000000, v2, vcc_lo
	v_cmp_ne_u32_e32 vcc_lo, 0, v4
	v_cndmask_b32_e32 v3, 0x38000000, v3, vcc_lo
	s_delay_alu instid0(VALU_DEP_3)
	v_cndmask_b32_e32 v2, 0, v2, vcc_lo
.LBB10_73:
	s_or_b32 exec_lo, exec_lo, s8
	s_delay_alu instid0(SALU_CYCLE_1)
	s_and_not1_b32 s6, s6, exec_lo
	s_and_b32 s8, s10, exec_lo
	s_and_not1_b32 s4, s4, exec_lo
	s_and_b32 s9, s9, exec_lo
	s_or_b32 s6, s6, s8
	s_or_b32 s4, s4, s9
.LBB10_74:
	s_or_b32 exec_lo, exec_lo, s7
	s_delay_alu instid0(SALU_CYCLE_1)
	s_and_b32 s7, s6, exec_lo
	s_and_b32 s6, s4, exec_lo
                                        ; implicit-def: $vgpr4
.LBB10_75:
	s_and_not1_saveexec_b32 s1, s1
	s_cbranch_execz .LBB10_79
; %bb.76:
	s_mov_b32 s4, -1
	s_mov_b32 s8, s7
	s_mov_b32 s9, exec_lo
                                        ; implicit-def: $vgpr2_vgpr3
	v_cmpx_eq_u16_e32 29, v4
	s_cbranch_execz .LBB10_78
; %bb.77:
	flat_load_b64 v[2:3], v[0:1]
	s_or_b32 s8, s7, exec_lo
	s_xor_b32 s4, exec_lo, -1
	s_waitcnt vmcnt(0) lgkmcnt(0)
	v_cvt_f64_u32_e32 v[3:4], v3
	v_cvt_f64_u32_e32 v[5:6], v2
	s_delay_alu instid0(VALU_DEP_2) | instskip(NEXT) | instid1(VALU_DEP_1)
	v_ldexp_f64 v[3:4], v[3:4], 32
	v_add_f64 v[2:3], v[3:4], v[5:6]
.LBB10_78:
	s_or_b32 exec_lo, exec_lo, s9
	s_delay_alu instid0(SALU_CYCLE_1)
	s_and_not1_b32 s7, s7, exec_lo
	s_and_b32 s8, s8, exec_lo
	s_and_not1_b32 s6, s6, exec_lo
	s_and_b32 s4, s4, exec_lo
	s_or_b32 s7, s7, s8
	s_or_b32 s6, s6, s4
.LBB10_79:
	s_or_b32 exec_lo, exec_lo, s1
	s_delay_alu instid0(SALU_CYCLE_1)
	s_and_b32 s4, s7, exec_lo
	s_and_b32 s6, s6, exec_lo
                                        ; implicit-def: $vgpr4
.LBB10_80:
	s_and_not1_saveexec_b32 s7, s0
	s_cbranch_execz .LBB10_98
; %bb.81:
	s_mov_b32 s0, exec_lo
                                        ; implicit-def: $vgpr2_vgpr3
	v_cmpx_lt_i16_e32 26, v4
	s_xor_b32 s0, exec_lo, s0
	s_cbranch_execz .LBB10_87
; %bb.82:
	s_mov_b32 s1, exec_lo
                                        ; implicit-def: $vgpr2_vgpr3
	v_cmpx_lt_i16_e32 27, v4
	s_xor_b32 s1, exec_lo, s1
	s_cbranch_execz .LBB10_84
; %bb.83:
	flat_load_b32 v2, v[0:1]
	s_waitcnt vmcnt(0) lgkmcnt(0)
	v_cvt_f64_u32_e32 v[2:3], v2
.LBB10_84:
	s_and_not1_saveexec_b32 s1, s1
	s_cbranch_execz .LBB10_86
; %bb.85:
	flat_load_u16 v2, v[0:1]
	s_waitcnt vmcnt(0) lgkmcnt(0)
	v_cvt_f64_u32_e32 v[2:3], v2
.LBB10_86:
	s_or_b32 exec_lo, exec_lo, s1
.LBB10_87:
	s_and_not1_saveexec_b32 s8, s0
	s_cbranch_execz .LBB10_97
; %bb.88:
	flat_load_u8 v4, v[0:1]
	s_mov_b32 s9, 0
	s_mov_b32 s10, exec_lo
                                        ; implicit-def: $sgpr0_sgpr1
	s_waitcnt vmcnt(0) lgkmcnt(0)
	v_cmpx_lt_i16_e32 0x7f, v4
	s_xor_b32 s10, exec_lo, s10
	s_cbranch_execz .LBB10_92
; %bb.89:
	s_mov_b32 s11, -1
	s_mov_b32 s9, exec_lo
                                        ; implicit-def: $sgpr0_sgpr1
	v_cmpx_eq_u16_e32 0x80, v4
; %bb.90:
	s_mov_b32 s1, 0x7ff80000
	s_brev_b32 s0, 4
	s_xor_b32 s11, exec_lo, -1
; %bb.91:
	s_or_b32 exec_lo, exec_lo, s9
	s_delay_alu instid0(SALU_CYCLE_1)
	s_and_b32 s9, s11, exec_lo
.LBB10_92:
	s_or_saveexec_b32 s10, s10
	v_dual_mov_b32 v3, s1 :: v_dual_mov_b32 v2, s0
	s_xor_b32 exec_lo, exec_lo, s10
; %bb.93:
	v_cmp_ne_u16_e32 vcc_lo, 0, v4
	v_mov_b32_e32 v2, 0
	v_mov_b32_e32 v3, 0
	s_and_not1_b32 s0, s9, exec_lo
	s_and_b32 s1, vcc_lo, exec_lo
	s_delay_alu instid0(SALU_CYCLE_1)
	s_or_b32 s9, s0, s1
; %bb.94:
	s_or_b32 exec_lo, exec_lo, s10
	s_and_saveexec_b32 s0, s9
	s_cbranch_execz .LBB10_96
; %bb.95:
	v_and_b32_e32 v2, 0xffff, v4
	v_lshlrev_b32_e32 v4, 24, v4
	s_delay_alu instid0(VALU_DEP_2) | instskip(NEXT) | instid1(VALU_DEP_2)
	v_and_b32_e32 v3, 7, v2
	v_and_b32_e32 v4, 0x80000000, v4
	s_delay_alu instid0(VALU_DEP_2) | instskip(NEXT) | instid1(VALU_DEP_1)
	v_clz_i32_u32_e32 v5, v3
	v_min_u32_e32 v5, 32, v5
	s_delay_alu instid0(VALU_DEP_1) | instskip(SKIP_1) | instid1(VALU_DEP_2)
	v_subrev_nc_u32_e32 v6, 28, v5
	v_sub_nc_u32_e32 v5, 29, v5
	v_lshlrev_b32_e32 v6, v6, v2
	v_bfe_u32 v2, v2, 3, 4
	s_delay_alu instid0(VALU_DEP_2) | instskip(NEXT) | instid1(VALU_DEP_2)
	v_and_b32_e32 v6, 7, v6
	v_cmp_eq_u32_e32 vcc_lo, 0, v2
	s_delay_alu instid0(VALU_DEP_2) | instskip(NEXT) | instid1(VALU_DEP_1)
	v_dual_cndmask_b32 v2, v2, v5 :: v_dual_cndmask_b32 v3, v3, v6
	v_lshl_add_u32 v2, v2, 23, 0x3b800000
	s_delay_alu instid0(VALU_DEP_2) | instskip(NEXT) | instid1(VALU_DEP_1)
	v_lshlrev_b32_e32 v3, 20, v3
	v_or3_b32 v2, v4, v2, v3
	s_delay_alu instid0(VALU_DEP_1)
	v_cvt_f64_f32_e32 v[2:3], v2
.LBB10_96:
	s_or_b32 exec_lo, exec_lo, s0
.LBB10_97:
	s_delay_alu instid0(SALU_CYCLE_1) | instskip(NEXT) | instid1(SALU_CYCLE_1)
	s_or_b32 exec_lo, exec_lo, s8
	s_or_b32 s4, s4, exec_lo
.LBB10_98:
	s_or_b32 exec_lo, exec_lo, s7
	s_delay_alu instid0(SALU_CYCLE_1)
	s_and_b32 s4, s4, exec_lo
	s_and_b32 s6, s6, exec_lo
                                        ; implicit-def: $vgpr4
	s_and_not1_saveexec_b32 s5, s5
	s_cbranch_execz .LBB10_3
.LBB10_99:
	s_mov_b32 s0, s4
                                        ; implicit-def: $vgpr2_vgpr3
	s_mov_b32 s1, exec_lo
	v_cmpx_lt_i16_e32 22, v4
	s_xor_b32 s3, exec_lo, s1
	s_cbranch_execz .LBB10_117
; %bb.100:
                                        ; implicit-def: $vgpr2_vgpr3
	s_mov_b32 s0, exec_lo
	v_cmpx_lt_i16_e32 23, v4
	s_xor_b32 s7, exec_lo, s0
	s_cbranch_execz .LBB10_114
; %bb.101:
	;; [unrolled: 6-line block ×3, first 2 shown]
	flat_load_u8 v4, v[0:1]
	s_mov_b32 s9, 0
	s_mov_b32 s10, exec_lo
                                        ; implicit-def: $sgpr0_sgpr1
	s_waitcnt vmcnt(0) lgkmcnt(0)
	v_cmpx_lt_i16_e32 0x7f, v4
	s_xor_b32 s10, exec_lo, s10
	s_cbranch_execz .LBB10_106
; %bb.103:
	s_mov_b32 s11, -1
	s_mov_b32 s9, exec_lo
                                        ; implicit-def: $sgpr0_sgpr1
	v_cmpx_eq_u16_e32 0x80, v4
; %bb.104:
	s_mov_b32 s1, 0x7ff80000
	s_brev_b32 s0, 4
	s_xor_b32 s11, exec_lo, -1
; %bb.105:
	s_or_b32 exec_lo, exec_lo, s9
	s_delay_alu instid0(SALU_CYCLE_1)
	s_and_b32 s9, s11, exec_lo
.LBB10_106:
	s_or_saveexec_b32 s10, s10
	v_dual_mov_b32 v3, s1 :: v_dual_mov_b32 v2, s0
	s_xor_b32 exec_lo, exec_lo, s10
; %bb.107:
	v_cmp_ne_u16_e32 vcc_lo, 0, v4
	v_mov_b32_e32 v2, 0
	v_mov_b32_e32 v3, 0
	s_and_not1_b32 s0, s9, exec_lo
	s_and_b32 s1, vcc_lo, exec_lo
	s_delay_alu instid0(SALU_CYCLE_1)
	s_or_b32 s9, s0, s1
; %bb.108:
	s_or_b32 exec_lo, exec_lo, s10
	s_and_saveexec_b32 s0, s9
	s_cbranch_execz .LBB10_110
; %bb.109:
	v_and_b32_e32 v2, 0xffff, v4
	v_lshlrev_b32_e32 v4, 24, v4
	s_delay_alu instid0(VALU_DEP_2) | instskip(NEXT) | instid1(VALU_DEP_2)
	v_and_b32_e32 v3, 3, v2
	v_and_b32_e32 v4, 0x80000000, v4
	s_delay_alu instid0(VALU_DEP_2) | instskip(NEXT) | instid1(VALU_DEP_1)
	v_clz_i32_u32_e32 v5, v3
	v_min_u32_e32 v5, 32, v5
	s_delay_alu instid0(VALU_DEP_1) | instskip(SKIP_1) | instid1(VALU_DEP_2)
	v_subrev_nc_u32_e32 v6, 29, v5
	v_sub_nc_u32_e32 v5, 30, v5
	v_lshlrev_b32_e32 v6, v6, v2
	v_bfe_u32 v2, v2, 2, 5
	s_delay_alu instid0(VALU_DEP_2) | instskip(NEXT) | instid1(VALU_DEP_2)
	v_and_b32_e32 v6, 3, v6
	v_cmp_eq_u32_e32 vcc_lo, 0, v2
	s_delay_alu instid0(VALU_DEP_2) | instskip(NEXT) | instid1(VALU_DEP_1)
	v_dual_cndmask_b32 v2, v2, v5 :: v_dual_cndmask_b32 v3, v3, v6
	v_lshl_add_u32 v2, v2, 23, 0x37800000
	s_delay_alu instid0(VALU_DEP_2) | instskip(NEXT) | instid1(VALU_DEP_1)
	v_lshlrev_b32_e32 v3, 21, v3
	v_or3_b32 v2, v4, v2, v3
	s_delay_alu instid0(VALU_DEP_1)
	v_cvt_f64_f32_e32 v[2:3], v2
.LBB10_110:
	s_or_b32 exec_lo, exec_lo, s0
.LBB10_111:
	s_and_not1_saveexec_b32 s0, s8
	s_cbranch_execz .LBB10_113
; %bb.112:
	flat_load_u8 v2, v[0:1]
	s_waitcnt vmcnt(0) lgkmcnt(0)
	v_lshlrev_b32_e32 v2, 24, v2
	s_delay_alu instid0(VALU_DEP_1) | instskip(NEXT) | instid1(VALU_DEP_1)
	v_and_b32_e32 v3, 0x7f000000, v2
	v_clz_i32_u32_e32 v4, v3
	v_add_nc_u32_e32 v6, 0x1000000, v3
	v_cmp_ne_u32_e32 vcc_lo, 0, v3
	s_delay_alu instid0(VALU_DEP_3) | instskip(NEXT) | instid1(VALU_DEP_1)
	v_min_u32_e32 v4, 32, v4
	v_sub_nc_u32_e64 v4, v4, 4 clamp
	s_delay_alu instid0(VALU_DEP_1) | instskip(SKIP_1) | instid1(VALU_DEP_2)
	v_lshlrev_b32_e32 v5, v4, v3
	v_lshlrev_b32_e32 v4, 23, v4
	v_lshrrev_b32_e32 v5, 4, v5
	s_delay_alu instid0(VALU_DEP_1) | instskip(SKIP_1) | instid1(VALU_DEP_2)
	v_sub_nc_u32_e32 v4, v5, v4
	v_ashrrev_i32_e32 v5, 8, v6
	v_add_nc_u32_e32 v4, 0x3c000000, v4
	s_delay_alu instid0(VALU_DEP_1) | instskip(NEXT) | instid1(VALU_DEP_1)
	v_and_or_b32 v4, 0x7f800000, v5, v4
	v_cndmask_b32_e32 v3, 0, v4, vcc_lo
	s_delay_alu instid0(VALU_DEP_1) | instskip(NEXT) | instid1(VALU_DEP_1)
	v_and_or_b32 v2, 0x80000000, v2, v3
	v_cvt_f64_f32_e32 v[2:3], v2
.LBB10_113:
	s_or_b32 exec_lo, exec_lo, s0
.LBB10_114:
	s_and_not1_saveexec_b32 s0, s7
	s_cbranch_execz .LBB10_116
; %bb.115:
	flat_load_u8 v2, v[0:1]
	s_waitcnt vmcnt(0) lgkmcnt(0)
	v_lshlrev_b32_e32 v3, 25, v2
	v_lshlrev_b16 v2, 8, v2
	s_delay_alu instid0(VALU_DEP_2) | instskip(NEXT) | instid1(VALU_DEP_2)
	v_lshrrev_b32_e32 v4, 4, v3
	v_and_or_b32 v5, 0x7f00, v2, 0.5
	v_bfe_i32 v2, v2, 0, 16
	s_delay_alu instid0(VALU_DEP_3) | instskip(NEXT) | instid1(VALU_DEP_1)
	v_or_b32_e32 v4, 0x70000000, v4
	v_dual_add_f32 v5, -0.5, v5 :: v_dual_mul_f32 v4, 0x7800000, v4
	v_cmp_gt_u32_e32 vcc_lo, 0x8000000, v3
	s_delay_alu instid0(VALU_DEP_2) | instskip(NEXT) | instid1(VALU_DEP_1)
	v_cndmask_b32_e32 v3, v4, v5, vcc_lo
	v_and_or_b32 v2, 0x80000000, v2, v3
	s_delay_alu instid0(VALU_DEP_1)
	v_cvt_f64_f32_e32 v[2:3], v2
.LBB10_116:
	s_or_b32 exec_lo, exec_lo, s0
	s_delay_alu instid0(SALU_CYCLE_1)
	s_or_b32 s0, s4, exec_lo
                                        ; implicit-def: $vgpr4
.LBB10_117:
	s_or_saveexec_b32 s1, s3
	s_mov_b32 s3, 0
	s_mov_b32 s7, s6
	s_xor_b32 exec_lo, exec_lo, s1
	s_cbranch_execz .LBB10_125
; %bb.118:
	s_mov_b32 s3, s6
	s_mov_b32 s7, s0
	s_mov_b32 s8, exec_lo
                                        ; implicit-def: $vgpr2_vgpr3
	v_cmpx_lt_i16_e32 14, v4
	s_xor_b32 s8, exec_lo, s8
	s_cbranch_execz .LBB10_122
; %bb.119:
	s_mov_b32 s3, -1
	s_mov_b32 s7, s0
	s_mov_b32 s9, exec_lo
                                        ; implicit-def: $vgpr2_vgpr3
	v_cmpx_eq_u16_e32 15, v4
	s_cbranch_execz .LBB10_121
; %bb.120:
	flat_load_u16 v2, v[0:1]
	s_or_b32 s7, s0, exec_lo
	s_xor_b32 s3, exec_lo, -1
	s_waitcnt vmcnt(0) lgkmcnt(0)
	v_lshlrev_b32_e32 v2, 16, v2
	s_delay_alu instid0(VALU_DEP_1)
	v_cvt_f64_f32_e32 v[2:3], v2
.LBB10_121:
	s_or_b32 exec_lo, exec_lo, s9
	s_delay_alu instid0(SALU_CYCLE_1)
	s_and_not1_b32 s9, s0, exec_lo
	s_and_b32 s7, s7, exec_lo
	s_and_not1_b32 s10, s6, exec_lo
	s_and_b32 s3, s3, exec_lo
	s_or_b32 s7, s9, s7
	s_or_b32 s3, s10, s3
                                        ; implicit-def: $vgpr4
.LBB10_122:
	s_or_saveexec_b32 s8, s8
	s_mov_b32 s9, 0
	s_xor_b32 exec_lo, exec_lo, s8
; %bb.123:
	v_cmp_ne_u16_e32 vcc_lo, 11, v4
	s_and_not1_b32 s3, s3, exec_lo
	s_mov_b32 s9, exec_lo
                                        ; implicit-def: $vgpr2_vgpr3
	s_and_b32 s10, vcc_lo, exec_lo
	s_delay_alu instid0(SALU_CYCLE_1)
	s_or_b32 s3, s3, s10
; %bb.124:
	s_or_b32 exec_lo, exec_lo, s8
	s_delay_alu instid0(SALU_CYCLE_1)
	s_and_not1_b32 s0, s0, exec_lo
	s_and_b32 s7, s7, exec_lo
	s_and_b32 s8, s3, exec_lo
	s_or_b32 s0, s0, s7
	s_and_not1_b32 s7, s6, exec_lo
	s_and_b32 s3, s9, exec_lo
	s_or_b32 s7, s7, s8
.LBB10_125:
	s_or_b32 exec_lo, exec_lo, s1
	s_delay_alu instid0(SALU_CYCLE_1)
	s_and_not1_b32 s1, s4, exec_lo
	s_and_b32 s0, s0, exec_lo
	s_and_b32 s3, s3, exec_lo
	s_or_b32 s4, s1, s0
	s_and_not1_b32 s0, s6, exec_lo
	s_and_b32 s1, s7, exec_lo
	s_delay_alu instid0(SALU_CYCLE_1)
	s_or_b32 s6, s0, s1
	s_or_b32 exec_lo, exec_lo, s5
	s_and_saveexec_b32 s0, s6
	s_cbranch_execz .LBB10_4
.LBB10_126:
	s_cbranch_execnz .LBB10_128
; %bb.127:
	; divergent unreachable
	s_and_not1_b32 s3, s3, exec_lo
                                        ; implicit-def: $vgpr2_vgpr3
	s_or_b32 exec_lo, exec_lo, s0
	s_and_saveexec_b32 s0, s3
	s_delay_alu instid0(SALU_CYCLE_1)
	s_xor_b32 s0, exec_lo, s0
	s_cbranch_execnz .LBB10_5
	s_branch .LBB10_6
.LBB10_128:
	s_trap 2
	s_sendmsg_rtn_b32 s0, sendmsg(MSG_RTN_GET_DOORBELL)
	s_mov_b32 ttmp2, m0
	s_waitcnt lgkmcnt(0)
	s_and_b32 s0, s0, 0x3ff
	s_delay_alu instid0(SALU_CYCLE_1) | instskip(NEXT) | instid1(SALU_CYCLE_1)
	s_bitset1_b32 s0, 10
	s_mov_b32 m0, s0
	s_sendmsg sendmsg(MSG_INTERRUPT)
	s_mov_b32 m0, ttmp2
.LBB10_129:                             ; =>This Inner Loop Header: Depth=1
	s_sethalt 5
	s_branch .LBB10_129
.Lfunc_end10:
	.size	_ZN2at6native6invokeIZZZNS0_12_GLOBAL__N_130modified_bessel_k0_kernel_cudaERNS_18TensorIteratorBaseEENKUlvE_clEvENKUlvE_clEvEUldE_j15function_traitsIS7_EEENT1_11result_typeERKT_PrKPcPKT0_PKN3c1010ScalarTypeEi, .Lfunc_end10-_ZN2at6native6invokeIZZZNS0_12_GLOBAL__N_130modified_bessel_k0_kernel_cudaERNS_18TensorIteratorBaseEENKUlvE_clEvENKUlvE_clEvEUldE_j15function_traitsIS7_EEENT1_11result_typeERKT_PrKPcPKT0_PKN3c1010ScalarTypeEi
                                        ; -- End function
	.section	.AMDGPU.csdata,"",@progbits
; Function info:
; codeLenInByte = 8816
; NumSgprs: 34
; NumVgprs: 28
; ScratchSize: 0
; MemoryBound: 1
	.section	.text._ZN2at6native32elementwise_kernel_manual_unrollILi128ELi4EZNS0_15gpu_kernel_implIZZZNS0_12_GLOBAL__N_130modified_bessel_k0_kernel_cudaERNS_18TensorIteratorBaseEENKUlvE_clEvENKUlvE_clEvEUldE_EEvS5_RKT_EUlibE0_EEviT1_,"axG",@progbits,_ZN2at6native32elementwise_kernel_manual_unrollILi128ELi4EZNS0_15gpu_kernel_implIZZZNS0_12_GLOBAL__N_130modified_bessel_k0_kernel_cudaERNS_18TensorIteratorBaseEENKUlvE_clEvENKUlvE_clEvEUldE_EEvS5_RKT_EUlibE0_EEviT1_,comdat
	.globl	_ZN2at6native32elementwise_kernel_manual_unrollILi128ELi4EZNS0_15gpu_kernel_implIZZZNS0_12_GLOBAL__N_130modified_bessel_k0_kernel_cudaERNS_18TensorIteratorBaseEENKUlvE_clEvENKUlvE_clEvEUldE_EEvS5_RKT_EUlibE0_EEviT1_ ; -- Begin function _ZN2at6native32elementwise_kernel_manual_unrollILi128ELi4EZNS0_15gpu_kernel_implIZZZNS0_12_GLOBAL__N_130modified_bessel_k0_kernel_cudaERNS_18TensorIteratorBaseEENKUlvE_clEvENKUlvE_clEvEUldE_EEvS5_RKT_EUlibE0_EEviT1_
	.p2align	8
	.type	_ZN2at6native32elementwise_kernel_manual_unrollILi128ELi4EZNS0_15gpu_kernel_implIZZZNS0_12_GLOBAL__N_130modified_bessel_k0_kernel_cudaERNS_18TensorIteratorBaseEENKUlvE_clEvENKUlvE_clEvEUldE_EEvS5_RKT_EUlibE0_EEviT1_,@function
_ZN2at6native32elementwise_kernel_manual_unrollILi128ELi4EZNS0_15gpu_kernel_implIZZZNS0_12_GLOBAL__N_130modified_bessel_k0_kernel_cudaERNS_18TensorIteratorBaseEENKUlvE_clEvENKUlvE_clEvEUldE_EEvS5_RKT_EUlibE0_EEviT1_: ; @_ZN2at6native32elementwise_kernel_manual_unrollILi128ELi4EZNS0_15gpu_kernel_implIZZZNS0_12_GLOBAL__N_130modified_bessel_k0_kernel_cudaERNS_18TensorIteratorBaseEENKUlvE_clEvENKUlvE_clEvEUldE_EEvS5_RKT_EUlibE0_EEviT1_
; %bb.0:
	s_clause 0x1
	s_load_b32 s33, s[0:1], 0x8
	s_load_b32 s41, s[0:1], 0x0
	v_lshl_or_b32 v30, s15, 9, v0
	s_mov_b64 s[12:13], s[0:1]
	s_mov_b32 s0, -1
	s_or_b32 s14, s12, 8
	s_mov_b32 s37, 0
	v_or_b32_e32 v3, 0x180, v30
	s_mov_b32 s15, s13
	s_mov_b32 s16, 0
	;; [unrolled: 1-line block ×3, first 2 shown]
	s_mov_b32 s1, exec_lo
	s_waitcnt lgkmcnt(0)
	s_add_i32 s36, s33, -1
	s_delay_alu instid0(SALU_CYCLE_1)
	s_cmp_gt_u32 s36, 1
	s_cselect_b32 s38, -1, 0
	v_cmpx_le_i32_e64 s41, v3
	s_xor_b32 s39, exec_lo, s1
	s_cbranch_execz .LBB11_183
; %bb.1:
	v_mov_b32_e32 v0, 0
	s_clause 0x3
	s_load_b128 s[24:27], s[14:15], 0x4
	s_load_b64 s[28:29], s[14:15], 0x14
	s_load_b128 s[20:23], s[14:15], 0xc4
	s_load_b128 s[16:19], s[14:15], 0x148
	s_cmp_lg_u32 s33, 0
	s_mov_b32 s46, 0
	s_cselect_b32 s43, -1, 0
	global_load_u16 v31, v0, s[14:15] offset:345
	s_add_u32 s34, s14, 0xc4
	s_addc_u32 s35, s15, 0
	s_min_u32 s42, s36, 15
	s_cmp_gt_u32 s33, 1
	s_mov_b32 s44, 0
	s_cselect_b32 s40, -1, 0
	s_mov_b32 s45, exec_lo
	s_waitcnt vmcnt(0)
	v_lshrrev_b16 v28, 8, v31
	v_cmpx_gt_i32_e64 s41, v30
                                        ; implicit-def: $vgpr2_vgpr3
	s_cbranch_execz .LBB11_134
; %bb.2:
	s_and_not1_b32 vcc_lo, exec_lo, s38
	s_cbranch_vccnz .LBB11_7
; %bb.3:
	v_dual_mov_b32 v29, 0 :: v_dual_mov_b32 v2, 0
	s_and_not1_b32 vcc_lo, exec_lo, s43
	s_mov_b32 s4, 0
	s_cbranch_vccnz .LBB11_12
; %bb.4:
	v_mov_b32_e32 v29, 0
	s_add_i32 s6, s42, 1
	s_cmp_eq_u32 s36, 2
	s_mov_b32 s5, 0
	s_cbranch_scc1 .LBB11_8
; %bb.5:
	v_dual_mov_b32 v2, 0 :: v_dual_mov_b32 v29, 0
	v_mov_b32_e32 v0, v30
	s_and_b32 s5, s6, 28
	s_mov_b32 s7, 0
	s_mov_b64 s[0:1], s[34:35]
	s_mov_b64 s[2:3], s[14:15]
.LBB11_6:                               ; =>This Inner Loop Header: Depth=1
	s_clause 0x1
	s_load_b256 s[48:55], s[2:3], 0x4
	s_load_b128 s[8:11], s[2:3], 0x24
	s_load_b256 s[56:63], s[0:1], 0x0
	s_add_u32 s2, s2, 48
	s_addc_u32 s3, s3, 0
	s_add_i32 s7, s7, 4
	s_add_u32 s0, s0, 32
	s_addc_u32 s1, s1, 0
	s_cmp_lg_u32 s5, s7
	s_waitcnt lgkmcnt(0)
	v_mul_hi_u32 v1, s49, v0
	s_delay_alu instid0(VALU_DEP_1) | instskip(NEXT) | instid1(VALU_DEP_1)
	v_add_nc_u32_e32 v1, v0, v1
	v_lshrrev_b32_e32 v1, s50, v1
	s_delay_alu instid0(VALU_DEP_1) | instskip(SKIP_1) | instid1(VALU_DEP_2)
	v_mul_hi_u32 v3, s52, v1
	v_mul_lo_u32 v5, v1, s48
	v_add_nc_u32_e32 v3, v1, v3
	s_delay_alu instid0(VALU_DEP_2) | instskip(NEXT) | instid1(VALU_DEP_2)
	v_sub_nc_u32_e32 v0, v0, v5
	v_lshrrev_b32_e32 v3, s53, v3
	s_delay_alu instid0(VALU_DEP_2) | instskip(SKIP_1) | instid1(VALU_DEP_3)
	v_mul_lo_u32 v5, v0, s56
	v_mul_lo_u32 v7, v0, s57
	v_mul_hi_u32 v4, s55, v3
	s_delay_alu instid0(VALU_DEP_1) | instskip(NEXT) | instid1(VALU_DEP_1)
	v_add_nc_u32_e32 v4, v3, v4
	v_lshrrev_b32_e32 v4, s8, v4
	s_delay_alu instid0(VALU_DEP_1) | instskip(SKIP_1) | instid1(VALU_DEP_2)
	v_mul_hi_u32 v6, s10, v4
	v_mul_lo_u32 v8, v4, s54
	v_add_nc_u32_e32 v0, v4, v6
	v_mul_lo_u32 v6, v3, s51
	s_delay_alu instid0(VALU_DEP_3) | instskip(NEXT) | instid1(VALU_DEP_3)
	v_sub_nc_u32_e32 v3, v3, v8
	v_lshrrev_b32_e32 v0, s11, v0
	s_delay_alu instid0(VALU_DEP_2) | instskip(SKIP_2) | instid1(VALU_DEP_4)
	v_mul_lo_u32 v8, v3, s60
	v_mul_lo_u32 v3, v3, s61
	v_sub_nc_u32_e32 v1, v1, v6
	v_mul_lo_u32 v9, v0, s9
	s_delay_alu instid0(VALU_DEP_2) | instskip(SKIP_1) | instid1(VALU_DEP_3)
	v_mul_lo_u32 v6, v1, s58
	v_mul_lo_u32 v1, v1, s59
	v_sub_nc_u32_e32 v4, v4, v9
	s_delay_alu instid0(VALU_DEP_3) | instskip(NEXT) | instid1(VALU_DEP_2)
	v_add3_u32 v5, v5, v29, v6
	v_mul_lo_u32 v9, v4, s62
	v_mul_lo_u32 v4, v4, s63
	v_add3_u32 v1, v7, v2, v1
	s_delay_alu instid0(VALU_DEP_3) | instskip(NEXT) | instid1(VALU_DEP_2)
	v_add3_u32 v29, v8, v5, v9
	v_add3_u32 v2, v3, v1, v4
	s_cbranch_scc1 .LBB11_6
	s_branch .LBB11_9
.LBB11_7:
	s_mov_b32 s4, -1
                                        ; implicit-def: $vgpr29
                                        ; implicit-def: $vgpr2
	s_branch .LBB11_12
.LBB11_8:
	v_mov_b32_e32 v0, v30
	v_mov_b32_e32 v2, 0
.LBB11_9:
	s_and_b32 s6, s6, 3
	s_delay_alu instid0(SALU_CYCLE_1)
	s_cmp_eq_u32 s6, 0
	s_cbranch_scc1 .LBB11_12
; %bb.10:
	s_lshl_b32 s0, s5, 3
	s_mul_i32 s2, s5, 12
	s_add_u32 s0, s0, s14
	s_addc_u32 s1, s15, 0
	s_add_u32 s0, s0, 0xc4
	s_addc_u32 s1, s1, 0
	;; [unrolled: 2-line block ×3, first 2 shown]
	.p2align	6
.LBB11_11:                              ; =>This Inner Loop Header: Depth=1
	s_clause 0x1
	s_load_b64 s[8:9], s[2:3], 0x4
	s_load_b32 s5, s[2:3], 0xc
	s_load_b64 s[10:11], s[0:1], 0x0
	s_add_u32 s2, s2, 12
	s_addc_u32 s3, s3, 0
	s_add_u32 s0, s0, 8
	s_addc_u32 s1, s1, 0
	s_add_i32 s6, s6, -1
	s_delay_alu instid0(SALU_CYCLE_1) | instskip(SKIP_2) | instid1(VALU_DEP_1)
	s_cmp_lg_u32 s6, 0
	s_waitcnt lgkmcnt(0)
	v_mul_hi_u32 v1, s9, v0
	v_add_nc_u32_e32 v1, v0, v1
	s_delay_alu instid0(VALU_DEP_1) | instskip(NEXT) | instid1(VALU_DEP_1)
	v_lshrrev_b32_e32 v1, s5, v1
	v_mul_lo_u32 v3, v1, s8
	s_delay_alu instid0(VALU_DEP_1) | instskip(NEXT) | instid1(VALU_DEP_1)
	v_sub_nc_u32_e32 v0, v0, v3
	v_mad_u64_u32 v[3:4], null, v0, s10, v[29:30]
	s_delay_alu instid0(VALU_DEP_1) | instskip(SKIP_1) | instid1(VALU_DEP_2)
	v_mad_u64_u32 v[4:5], null, v0, s11, v[2:3]
	v_dual_mov_b32 v0, v1 :: v_dual_mov_b32 v29, v3
	v_mov_b32_e32 v2, v4
	s_cbranch_scc1 .LBB11_11
.LBB11_12:
	s_and_not1_b32 vcc_lo, exec_lo, s4
	s_cbranch_vccnz .LBB11_15
; %bb.13:
	s_waitcnt lgkmcnt(0)
	v_mul_hi_u32 v0, s25, v30
	s_and_not1_b32 vcc_lo, exec_lo, s40
	s_delay_alu instid0(VALU_DEP_1) | instskip(NEXT) | instid1(VALU_DEP_1)
	v_add_nc_u32_e32 v0, v30, v0
	v_lshrrev_b32_e32 v0, s26, v0
	s_delay_alu instid0(VALU_DEP_1) | instskip(NEXT) | instid1(VALU_DEP_1)
	v_mul_lo_u32 v1, v0, s24
	v_sub_nc_u32_e32 v1, v30, v1
	s_delay_alu instid0(VALU_DEP_1)
	v_mul_lo_u32 v29, v1, s20
	v_mul_lo_u32 v2, v1, s21
	s_cbranch_vccnz .LBB11_15
; %bb.14:
	v_mul_hi_u32 v1, s28, v0
	s_delay_alu instid0(VALU_DEP_1) | instskip(NEXT) | instid1(VALU_DEP_1)
	v_add_nc_u32_e32 v1, v0, v1
	v_lshrrev_b32_e32 v1, s29, v1
	s_delay_alu instid0(VALU_DEP_1) | instskip(NEXT) | instid1(VALU_DEP_1)
	v_mul_lo_u32 v1, v1, s27
	v_sub_nc_u32_e32 v5, v0, v1
	s_delay_alu instid0(VALU_DEP_1) | instskip(SKIP_1) | instid1(VALU_DEP_1)
	v_mad_u64_u32 v[0:1], null, v5, s22, v[29:30]
	v_mad_u64_u32 v[3:4], null, v5, s23, v[2:3]
	v_dual_mov_b32 v29, v0 :: v_dual_mov_b32 v2, v3
.LBB11_15:
	s_waitcnt lgkmcnt(0)
	v_dual_mov_b32 v0, s18 :: v_dual_mov_b32 v1, s19
	v_mov_b32_e32 v3, v28
	s_getpc_b64 s[0:1]
	s_add_u32 s0, s0, _ZN2at6native6invokeIZZZNS0_12_GLOBAL__N_130modified_bessel_k0_kernel_cudaERNS_18TensorIteratorBaseEENKUlvE_clEvENKUlvE_clEvEUldE_j15function_traitsIS7_EEENT1_11result_typeERKT_PrKPcPKT0_PKN3c1010ScalarTypeEi@rel32@lo+4
	s_addc_u32 s1, s1, _ZN2at6native6invokeIZZZNS0_12_GLOBAL__N_130modified_bessel_k0_kernel_cudaERNS_18TensorIteratorBaseEENKUlvE_clEvENKUlvE_clEvEUldE_j15function_traitsIS7_EEENT1_11result_typeERKT_PrKPcPKT0_PKN3c1010ScalarTypeEi@rel32@hi+12
	s_delay_alu instid0(SALU_CYCLE_1) | instskip(SKIP_2) | instid1(VALU_DEP_1)
	s_swappc_b64 s[30:31], s[0:1]
	v_and_b32_e32 v6, 0xff, v31
	v_add_co_u32 v4, s1, s16, v29
	v_add_co_ci_u32_e64 v5, null, s17, 0, s1
	s_delay_alu instid0(VALU_DEP_3)
	v_cmp_gt_i16_e32 vcc_lo, 11, v6
	s_mov_b32 s0, 0
	s_mov_b32 s2, -1
	s_mov_b32 s1, 0
	s_cbranch_vccnz .LBB11_93
; %bb.16:
	v_cmp_lt_i16_e32 vcc_lo, 25, v6
	s_cbranch_vccz .LBB11_49
; %bb.17:
	v_cmp_lt_i16_e32 vcc_lo, 28, v6
	s_cbranch_vccz .LBB11_32
	;; [unrolled: 3-line block ×4, first 2 shown]
; %bb.20:
	v_cmp_eq_u16_e32 vcc_lo, 46, v6
	s_mov_b32 s2, 0
	s_mov_b32 s0, -1
	s_cbranch_vccz .LBB11_22
; %bb.21:
	v_cvt_f32_f64_e32 v2, v[0:1]
	s_mov_b32 s1, -1
	s_mov_b32 s0, 0
	s_delay_alu instid0(VALU_DEP_1) | instskip(SKIP_1) | instid1(VALU_DEP_2)
	v_bfe_u32 v3, v2, 16, 1
	v_cmp_o_f32_e32 vcc_lo, v2, v2
	v_add3_u32 v3, v2, v3, 0x7fff
	s_delay_alu instid0(VALU_DEP_1) | instskip(NEXT) | instid1(VALU_DEP_1)
	v_lshrrev_b32_e32 v3, 16, v3
	v_cndmask_b32_e32 v2, 0x7fc0, v3, vcc_lo
	global_store_b32 v[4:5], v2, off
.LBB11_22:
	s_and_b32 vcc_lo, exec_lo, s2
	s_cbranch_vccz .LBB11_27
; %bb.23:
	v_cmp_eq_u16_e32 vcc_lo, 44, v6
	s_mov_b32 s0, -1
	s_cbranch_vccz .LBB11_27
; %bb.24:
	v_cvt_f32_f64_e32 v2, v[0:1]
	v_mov_b32_e32 v3, 0xff
	s_mov_b32 s1, exec_lo
	s_delay_alu instid0(VALU_DEP_2) | instskip(NEXT) | instid1(VALU_DEP_1)
	v_bfe_u32 v7, v2, 23, 8
	v_cmpx_ne_u32_e32 0xff, v7
; %bb.25:
	v_and_b32_e32 v3, 0x400000, v2
	v_and_or_b32 v7, 0x3fffff, v2, v7
	v_lshrrev_b32_e32 v2, 23, v2
	s_delay_alu instid0(VALU_DEP_3) | instskip(NEXT) | instid1(VALU_DEP_3)
	v_cmp_ne_u32_e32 vcc_lo, 0, v3
	v_cmp_ne_u32_e64 s0, 0, v7
	s_delay_alu instid0(VALU_DEP_1) | instskip(NEXT) | instid1(SALU_CYCLE_1)
	s_and_b32 s0, vcc_lo, s0
	v_cndmask_b32_e64 v3, 0, 1, s0
	s_delay_alu instid0(VALU_DEP_1)
	v_add_nc_u32_e32 v3, v2, v3
; %bb.26:
	s_or_b32 exec_lo, exec_lo, s1
	s_mov_b32 s1, -1
	s_mov_b32 s0, 0
	global_store_b8 v[4:5], v3, off
.LBB11_27:
	s_mov_b32 s2, 0
.LBB11_28:
	s_delay_alu instid0(SALU_CYCLE_1)
	s_and_b32 vcc_lo, exec_lo, s2
	s_cbranch_vccz .LBB11_31
; %bb.29:
	v_cmp_eq_u16_e32 vcc_lo, 29, v6
	s_mov_b32 s0, -1
	s_cbranch_vccz .LBB11_31
; %bb.30:
	v_trunc_f64_e32 v[2:3], v[0:1]
	s_mov_b32 s1, -1
	s_mov_b32 s0, 0
	s_delay_alu instid0(VALU_DEP_1) | instskip(NEXT) | instid1(VALU_DEP_1)
	v_ldexp_f64 v[7:8], v[2:3], 0xffffffe0
	v_floor_f64_e32 v[7:8], v[7:8]
	s_delay_alu instid0(VALU_DEP_1) | instskip(SKIP_1) | instid1(VALU_DEP_2)
	v_fma_f64 v[2:3], 0xc1f00000, v[7:8], v[2:3]
	v_cvt_u32_f64_e32 v8, v[7:8]
	v_cvt_u32_f64_e32 v7, v[2:3]
	global_store_b64 v[4:5], v[7:8], off
.LBB11_31:
	s_mov_b32 s2, 0
.LBB11_32:
	s_delay_alu instid0(SALU_CYCLE_1)
	s_and_b32 vcc_lo, exec_lo, s2
	s_cbranch_vccz .LBB11_48
; %bb.33:
	v_cmp_gt_i16_e32 vcc_lo, 27, v6
	s_mov_b32 s1, -1
	s_cbranch_vccnz .LBB11_39
; %bb.34:
	v_cvt_u32_f64_e32 v2, v[0:1]
	v_cmp_lt_i16_e32 vcc_lo, 27, v6
	s_cbranch_vccz .LBB11_36
; %bb.35:
	s_mov_b32 s1, 0
	global_store_b32 v[4:5], v2, off
.LBB11_36:
	s_and_not1_b32 vcc_lo, exec_lo, s1
	s_cbranch_vccnz .LBB11_38
; %bb.37:
	global_store_b16 v[4:5], v2, off
.LBB11_38:
	s_mov_b32 s1, 0
.LBB11_39:
	s_delay_alu instid0(SALU_CYCLE_1)
	s_and_not1_b32 vcc_lo, exec_lo, s1
	s_cbranch_vccnz .LBB11_47
; %bb.40:
	v_cvt_f32_f64_e32 v2, v[0:1]
	v_mov_b32_e32 v7, 0x80
	s_mov_b32 s1, exec_lo
	s_delay_alu instid0(VALU_DEP_2) | instskip(NEXT) | instid1(VALU_DEP_1)
	v_and_b32_e32 v3, 0x7fffffff, v2
	v_cmpx_gt_u32_e32 0x43800000, v3
	s_cbranch_execz .LBB11_46
; %bb.41:
	v_cmp_lt_u32_e32 vcc_lo, 0x3bffffff, v3
	s_mov_b32 s2, 0
                                        ; implicit-def: $vgpr3
	s_and_saveexec_b32 s3, vcc_lo
	s_delay_alu instid0(SALU_CYCLE_1)
	s_xor_b32 s3, exec_lo, s3
	s_cbranch_execz .LBB11_772
; %bb.42:
	v_bfe_u32 v3, v2, 20, 1
	s_mov_b32 s2, exec_lo
	s_delay_alu instid0(VALU_DEP_1) | instskip(NEXT) | instid1(VALU_DEP_1)
	v_add3_u32 v3, v2, v3, 0x487ffff
	v_lshrrev_b32_e32 v3, 20, v3
	s_or_saveexec_b32 s3, s3
                                        ; implicit-def: $sgpr4
	s_delay_alu instid0(SALU_CYCLE_1)
	s_xor_b32 exec_lo, exec_lo, s3
	s_cbranch_execnz .LBB11_773
.LBB11_43:
	s_or_b32 exec_lo, exec_lo, s3
	v_mov_b32_e32 v7, s4
	s_and_saveexec_b32 s3, s2
.LBB11_44:
	v_lshrrev_b32_e32 v2, 24, v2
	s_delay_alu instid0(VALU_DEP_1)
	v_and_or_b32 v7, 0x80, v2, v3
.LBB11_45:
	s_or_b32 exec_lo, exec_lo, s3
.LBB11_46:
	s_delay_alu instid0(SALU_CYCLE_1)
	s_or_b32 exec_lo, exec_lo, s1
	global_store_b8 v[4:5], v7, off
.LBB11_47:
	s_mov_b32 s1, -1
.LBB11_48:
	s_mov_b32 s2, 0
.LBB11_49:
	s_delay_alu instid0(SALU_CYCLE_1)
	s_and_b32 vcc_lo, exec_lo, s2
	s_cbranch_vccz .LBB11_90
; %bb.50:
	v_cmp_lt_i16_e32 vcc_lo, 22, v6
	s_mov_b32 s2, -1
	s_cbranch_vccz .LBB11_82
; %bb.51:
	v_cmp_gt_i16_e32 vcc_lo, 24, v6
	s_mov_b32 s1, -1
	s_cbranch_vccnz .LBB11_71
; %bb.52:
	v_cmp_lt_i16_e32 vcc_lo, 24, v6
	s_cbranch_vccz .LBB11_60
; %bb.53:
	v_cvt_f32_f64_e32 v2, v[0:1]
	v_mov_b32_e32 v7, 0x80
	s_mov_b32 s1, exec_lo
	s_delay_alu instid0(VALU_DEP_2) | instskip(NEXT) | instid1(VALU_DEP_1)
	v_and_b32_e32 v3, 0x7fffffff, v2
	v_cmpx_gt_u32_e32 0x47800000, v3
	s_cbranch_execz .LBB11_59
; %bb.54:
	v_cmp_lt_u32_e32 vcc_lo, 0x37ffffff, v3
	s_mov_b32 s2, 0
                                        ; implicit-def: $vgpr3
	s_and_saveexec_b32 s3, vcc_lo
	s_delay_alu instid0(SALU_CYCLE_1)
	s_xor_b32 s3, exec_lo, s3
	s_cbranch_execz .LBB11_783
; %bb.55:
	v_bfe_u32 v3, v2, 21, 1
	s_mov_b32 s2, exec_lo
	s_delay_alu instid0(VALU_DEP_1) | instskip(NEXT) | instid1(VALU_DEP_1)
	v_add3_u32 v3, v2, v3, 0x88fffff
	v_lshrrev_b32_e32 v3, 21, v3
	s_or_saveexec_b32 s3, s3
                                        ; implicit-def: $sgpr4
	s_delay_alu instid0(SALU_CYCLE_1)
	s_xor_b32 exec_lo, exec_lo, s3
	s_cbranch_execnz .LBB11_784
.LBB11_56:
	s_or_b32 exec_lo, exec_lo, s3
	v_mov_b32_e32 v7, s4
	s_and_saveexec_b32 s3, s2
.LBB11_57:
	v_lshrrev_b32_e32 v2, 24, v2
	s_delay_alu instid0(VALU_DEP_1)
	v_and_or_b32 v7, 0x80, v2, v3
.LBB11_58:
	s_or_b32 exec_lo, exec_lo, s3
.LBB11_59:
	s_delay_alu instid0(SALU_CYCLE_1)
	s_or_b32 exec_lo, exec_lo, s1
	s_mov_b32 s1, 0
	global_store_b8 v[4:5], v7, off
.LBB11_60:
	s_and_b32 vcc_lo, exec_lo, s1
	s_cbranch_vccz .LBB11_70
; %bb.61:
	v_cvt_f32_f64_e32 v2, v[0:1]
	s_mov_b32 s1, exec_lo
                                        ; implicit-def: $vgpr3
	s_delay_alu instid0(VALU_DEP_1) | instskip(NEXT) | instid1(VALU_DEP_1)
	v_and_b32_e32 v7, 0x7fffffff, v2
	v_cmpx_gt_u32_e32 0x43f00000, v7
	s_xor_b32 s1, exec_lo, s1
	s_cbranch_execz .LBB11_67
; %bb.62:
	s_mov_b32 s2, exec_lo
                                        ; implicit-def: $vgpr3
	v_cmpx_lt_u32_e32 0x3c7fffff, v7
	s_xor_b32 s2, exec_lo, s2
; %bb.63:
	v_bfe_u32 v3, v2, 20, 1
	s_delay_alu instid0(VALU_DEP_1) | instskip(NEXT) | instid1(VALU_DEP_1)
	v_add3_u32 v3, v2, v3, 0x407ffff
	v_and_b32_e32 v7, 0xff00000, v3
	v_lshrrev_b32_e32 v3, 20, v3
	s_delay_alu instid0(VALU_DEP_2) | instskip(NEXT) | instid1(VALU_DEP_2)
	v_cmp_ne_u32_e32 vcc_lo, 0x7f00000, v7
	v_cndmask_b32_e32 v3, 0x7e, v3, vcc_lo
; %bb.64:
	s_and_not1_saveexec_b32 s2, s2
; %bb.65:
	v_add_f32_e64 v3, 0x46800000, |v2|
; %bb.66:
	s_or_b32 exec_lo, exec_lo, s2
                                        ; implicit-def: $vgpr7
.LBB11_67:
	s_and_not1_saveexec_b32 s1, s1
; %bb.68:
	v_mov_b32_e32 v3, 0x7f
	v_cmp_lt_u32_e32 vcc_lo, 0x7f800000, v7
	s_delay_alu instid0(VALU_DEP_2)
	v_cndmask_b32_e32 v3, 0x7e, v3, vcc_lo
; %bb.69:
	s_or_b32 exec_lo, exec_lo, s1
	v_lshrrev_b32_e32 v2, 24, v2
	s_delay_alu instid0(VALU_DEP_1)
	v_and_or_b32 v2, 0x80, v2, v3
	global_store_b8 v[4:5], v2, off
.LBB11_70:
	s_mov_b32 s1, 0
.LBB11_71:
	s_delay_alu instid0(SALU_CYCLE_1)
	s_and_not1_b32 vcc_lo, exec_lo, s1
	s_cbranch_vccnz .LBB11_81
; %bb.72:
	v_cvt_f32_f64_e32 v2, v[0:1]
	s_mov_b32 s1, exec_lo
                                        ; implicit-def: $vgpr3
	s_delay_alu instid0(VALU_DEP_1) | instskip(NEXT) | instid1(VALU_DEP_1)
	v_and_b32_e32 v7, 0x7fffffff, v2
	v_cmpx_gt_u32_e32 0x47800000, v7
	s_xor_b32 s1, exec_lo, s1
	s_cbranch_execz .LBB11_78
; %bb.73:
	s_mov_b32 s2, exec_lo
                                        ; implicit-def: $vgpr3
	v_cmpx_lt_u32_e32 0x387fffff, v7
	s_xor_b32 s2, exec_lo, s2
; %bb.74:
	v_bfe_u32 v3, v2, 21, 1
	s_delay_alu instid0(VALU_DEP_1) | instskip(NEXT) | instid1(VALU_DEP_1)
	v_add3_u32 v3, v2, v3, 0x80fffff
	v_lshrrev_b32_e32 v3, 21, v3
; %bb.75:
	s_and_not1_saveexec_b32 s2, s2
; %bb.76:
	v_add_f32_e64 v3, 0x43000000, |v2|
; %bb.77:
	s_or_b32 exec_lo, exec_lo, s2
                                        ; implicit-def: $vgpr7
.LBB11_78:
	s_and_not1_saveexec_b32 s1, s1
; %bb.79:
	v_mov_b32_e32 v3, 0x7f
	v_cmp_lt_u32_e32 vcc_lo, 0x7f800000, v7
	s_delay_alu instid0(VALU_DEP_2)
	v_cndmask_b32_e32 v3, 0x7c, v3, vcc_lo
; %bb.80:
	s_or_b32 exec_lo, exec_lo, s1
	v_lshrrev_b32_e32 v2, 24, v2
	s_delay_alu instid0(VALU_DEP_1)
	v_and_or_b32 v2, 0x80, v2, v3
	global_store_b8 v[4:5], v2, off
.LBB11_81:
	s_mov_b32 s2, 0
	s_mov_b32 s1, -1
.LBB11_82:
	s_and_not1_b32 vcc_lo, exec_lo, s2
	s_cbranch_vccnz .LBB11_90
; %bb.83:
	v_cmp_lt_i16_e32 vcc_lo, 14, v6
	s_mov_b32 s2, -1
	s_cbranch_vccz .LBB11_87
; %bb.84:
	v_cmp_eq_u16_e32 vcc_lo, 15, v6
	s_mov_b32 s0, -1
	s_cbranch_vccz .LBB11_86
; %bb.85:
	v_cvt_f32_f64_e32 v2, v[0:1]
	s_mov_b32 s1, -1
	s_mov_b32 s0, 0
	s_delay_alu instid0(VALU_DEP_1) | instskip(SKIP_1) | instid1(VALU_DEP_2)
	v_bfe_u32 v3, v2, 16, 1
	v_cmp_o_f32_e32 vcc_lo, v2, v2
	v_add3_u32 v3, v2, v3, 0x7fff
	s_delay_alu instid0(VALU_DEP_1) | instskip(NEXT) | instid1(VALU_DEP_1)
	v_lshrrev_b32_e32 v3, 16, v3
	v_cndmask_b32_e32 v2, 0x7fc0, v3, vcc_lo
	global_store_b16 v[4:5], v2, off
.LBB11_86:
	s_mov_b32 s2, 0
.LBB11_87:
	s_delay_alu instid0(SALU_CYCLE_1)
	s_and_b32 vcc_lo, exec_lo, s2
	s_cbranch_vccz .LBB11_90
; %bb.88:
	v_cmp_eq_u16_e32 vcc_lo, 11, v6
	s_mov_b32 s0, -1
	s_cbranch_vccz .LBB11_90
; %bb.89:
	v_cmp_neq_f64_e32 vcc_lo, 0, v[0:1]
	s_mov_b32 s1, -1
	s_mov_b32 s0, 0
	v_cndmask_b32_e64 v2, 0, 1, vcc_lo
	global_store_b8 v[4:5], v2, off
.LBB11_90:
.LBB11_91:
	s_and_not1_b32 vcc_lo, exec_lo, s1
	s_cbranch_vccnz .LBB11_132
.LBB11_92:
	v_add_nc_u32_e32 v30, 0x80, v30
	s_mov_b32 s1, -1
	s_branch .LBB11_133
.LBB11_93:
	s_and_b32 vcc_lo, exec_lo, s2
	s_cbranch_vccz .LBB11_91
; %bb.94:
	v_cmp_gt_i16_e32 vcc_lo, 5, v6
	s_mov_b32 s1, -1
	s_cbranch_vccnz .LBB11_115
; %bb.95:
	v_cmp_gt_i16_e32 vcc_lo, 8, v6
	s_cbranch_vccnz .LBB11_105
; %bb.96:
	v_cmp_gt_i16_e32 vcc_lo, 9, v6
	s_cbranch_vccnz .LBB11_102
; %bb.97:
	v_cmp_lt_i16_e32 vcc_lo, 9, v6
	s_cbranch_vccz .LBB11_99
; %bb.98:
	v_mov_b32_e32 v2, 0
	s_mov_b32 s1, 0
	s_delay_alu instid0(VALU_DEP_1)
	v_mov_b32_e32 v3, v2
	global_store_b128 v[4:5], v[0:3], off
.LBB11_99:
	s_and_not1_b32 vcc_lo, exec_lo, s1
	s_cbranch_vccnz .LBB11_101
; %bb.100:
	v_cvt_f32_f64_e32 v2, v[0:1]
	v_mov_b32_e32 v3, 0
	global_store_b64 v[4:5], v[2:3], off
.LBB11_101:
	s_mov_b32 s1, 0
.LBB11_102:
	s_delay_alu instid0(SALU_CYCLE_1)
	s_and_not1_b32 vcc_lo, exec_lo, s1
	s_cbranch_vccnz .LBB11_104
; %bb.103:
	v_cvt_f32_f64_e32 v2, v[0:1]
	s_delay_alu instid0(VALU_DEP_1) | instskip(NEXT) | instid1(VALU_DEP_1)
	v_cvt_f16_f32_e32 v2, v2
	v_and_b32_e32 v2, 0xffff, v2
	global_store_b32 v[4:5], v2, off
.LBB11_104:
	s_mov_b32 s1, 0
.LBB11_105:
	s_delay_alu instid0(SALU_CYCLE_1)
	s_and_not1_b32 vcc_lo, exec_lo, s1
	s_cbranch_vccnz .LBB11_114
; %bb.106:
	v_cmp_gt_i16_e32 vcc_lo, 6, v6
	s_mov_b32 s1, -1
	s_cbranch_vccnz .LBB11_112
; %bb.107:
	v_cmp_lt_i16_e32 vcc_lo, 6, v6
	s_cbranch_vccz .LBB11_109
; %bb.108:
	s_mov_b32 s1, 0
	global_store_b64 v[4:5], v[0:1], off
.LBB11_109:
	s_and_not1_b32 vcc_lo, exec_lo, s1
	s_cbranch_vccnz .LBB11_111
; %bb.110:
	v_cvt_f32_f64_e32 v2, v[0:1]
	global_store_b32 v[4:5], v2, off
.LBB11_111:
	s_mov_b32 s1, 0
.LBB11_112:
	s_delay_alu instid0(SALU_CYCLE_1)
	s_and_not1_b32 vcc_lo, exec_lo, s1
	s_cbranch_vccnz .LBB11_114
; %bb.113:
	v_cvt_f32_f64_e32 v2, v[0:1]
	s_delay_alu instid0(VALU_DEP_1)
	v_cvt_f16_f32_e32 v2, v2
	global_store_b16 v[4:5], v2, off
.LBB11_114:
	s_mov_b32 s1, 0
.LBB11_115:
	s_delay_alu instid0(SALU_CYCLE_1)
	s_and_not1_b32 vcc_lo, exec_lo, s1
	s_cbranch_vccnz .LBB11_131
; %bb.116:
	v_cmp_gt_i16_e32 vcc_lo, 2, v6
	s_mov_b32 s1, -1
	s_cbranch_vccnz .LBB11_126
; %bb.117:
	v_cmp_gt_i16_e32 vcc_lo, 3, v6
	s_cbranch_vccnz .LBB11_123
; %bb.118:
	v_cmp_lt_i16_e32 vcc_lo, 3, v6
	s_cbranch_vccz .LBB11_120
; %bb.119:
	v_trunc_f64_e32 v[2:3], v[0:1]
	s_mov_b32 s1, 0
	s_delay_alu instid0(VALU_DEP_1) | instskip(NEXT) | instid1(VALU_DEP_1)
	v_ldexp_f64 v[7:8], v[2:3], 0xffffffe0
	v_floor_f64_e32 v[7:8], v[7:8]
	s_delay_alu instid0(VALU_DEP_1) | instskip(SKIP_1) | instid1(VALU_DEP_2)
	v_fma_f64 v[2:3], 0xc1f00000, v[7:8], v[2:3]
	v_cvt_i32_f64_e32 v8, v[7:8]
	v_cvt_u32_f64_e32 v7, v[2:3]
	global_store_b64 v[4:5], v[7:8], off
.LBB11_120:
	s_and_not1_b32 vcc_lo, exec_lo, s1
	s_cbranch_vccnz .LBB11_122
; %bb.121:
	v_cvt_i32_f64_e32 v2, v[0:1]
	global_store_b32 v[4:5], v2, off
.LBB11_122:
	s_mov_b32 s1, 0
.LBB11_123:
	s_delay_alu instid0(SALU_CYCLE_1)
	s_and_not1_b32 vcc_lo, exec_lo, s1
	s_cbranch_vccnz .LBB11_125
; %bb.124:
	v_cvt_i32_f64_e32 v2, v[0:1]
	global_store_b16 v[4:5], v2, off
.LBB11_125:
	s_mov_b32 s1, 0
.LBB11_126:
	s_delay_alu instid0(SALU_CYCLE_1)
	s_and_not1_b32 vcc_lo, exec_lo, s1
	s_cbranch_vccnz .LBB11_131
; %bb.127:
	v_cmp_lt_i16_e32 vcc_lo, 0, v6
	s_mov_b32 s1, -1
	s_cbranch_vccz .LBB11_129
; %bb.128:
	v_cvt_i32_f64_e32 v2, v[0:1]
	s_mov_b32 s1, 0
	global_store_b8 v[4:5], v2, off
.LBB11_129:
	s_and_not1_b32 vcc_lo, exec_lo, s1
	s_cbranch_vccnz .LBB11_131
; %bb.130:
	v_trunc_f64_e32 v[0:1], v[0:1]
	s_delay_alu instid0(VALU_DEP_1) | instskip(NEXT) | instid1(VALU_DEP_1)
	v_ldexp_f64 v[2:3], v[0:1], 0xffffffe0
	v_floor_f64_e32 v[2:3], v[2:3]
	s_delay_alu instid0(VALU_DEP_1) | instskip(NEXT) | instid1(VALU_DEP_1)
	v_fma_f64 v[0:1], 0xc1f00000, v[2:3], v[0:1]
	v_cvt_u32_f64_e32 v0, v[0:1]
	global_store_b8 v[4:5], v0, off
.LBB11_131:
	s_branch .LBB11_92
.LBB11_132:
	s_mov_b32 s1, 0
                                        ; implicit-def: $vgpr30
.LBB11_133:
	s_and_b32 s44, s0, exec_lo
	s_or_not1_b32 s0, s1, exec_lo
.LBB11_134:
	s_or_b32 exec_lo, exec_lo, s45
	s_mov_b32 s1, 0
                                        ; implicit-def: $vgpr6
                                        ; implicit-def: $vgpr4_vgpr5
                                        ; implicit-def: $vgpr0_vgpr1
	s_and_saveexec_b32 s45, s0
	s_cbranch_execz .LBB11_141
; %bb.135:
	s_mov_b32 s2, -1
	s_mov_b32 s46, s44
	s_mov_b32 s47, exec_lo
	v_cmpx_gt_i32_e64 s41, v30
	s_cbranch_execz .LBB11_858
; %bb.136:
	s_and_not1_b32 vcc_lo, exec_lo, s38
	s_cbranch_vccnz .LBB11_711
; %bb.137:
	v_dual_mov_b32 v29, 0 :: v_dual_mov_b32 v2, 0
	s_and_not1_b32 vcc_lo, exec_lo, s43
	s_mov_b32 s4, 0
	s_cbranch_vccnz .LBB11_716
; %bb.138:
	v_mov_b32_e32 v29, 0
	s_add_i32 s6, s42, 1
	s_cmp_eq_u32 s36, 2
	s_mov_b32 s5, 0
	s_cbranch_scc1 .LBB11_712
; %bb.139:
	v_dual_mov_b32 v2, 0 :: v_dual_mov_b32 v29, 0
	v_mov_b32_e32 v0, v30
	s_and_b32 s5, s6, 28
	s_mov_b32 s7, 0
	s_mov_b64 s[0:1], s[34:35]
	s_mov_b64 s[2:3], s[14:15]
.LBB11_140:                             ; =>This Inner Loop Header: Depth=1
	s_clause 0x1
	s_load_b256 s[48:55], s[2:3], 0x4
	s_load_b128 s[8:11], s[2:3], 0x24
	s_load_b256 s[56:63], s[0:1], 0x0
	s_add_u32 s2, s2, 48
	s_addc_u32 s3, s3, 0
	s_add_i32 s7, s7, 4
	s_add_u32 s0, s0, 32
	s_addc_u32 s1, s1, 0
	s_cmp_eq_u32 s5, s7
	s_waitcnt lgkmcnt(0)
	v_mul_hi_u32 v1, s49, v0
	s_delay_alu instid0(VALU_DEP_1) | instskip(NEXT) | instid1(VALU_DEP_1)
	v_add_nc_u32_e32 v1, v0, v1
	v_lshrrev_b32_e32 v1, s50, v1
	s_delay_alu instid0(VALU_DEP_1) | instskip(SKIP_1) | instid1(VALU_DEP_2)
	v_mul_hi_u32 v3, s52, v1
	v_mul_lo_u32 v5, v1, s48
	v_add_nc_u32_e32 v3, v1, v3
	s_delay_alu instid0(VALU_DEP_2) | instskip(NEXT) | instid1(VALU_DEP_2)
	v_sub_nc_u32_e32 v0, v0, v5
	v_lshrrev_b32_e32 v3, s53, v3
	s_delay_alu instid0(VALU_DEP_2) | instskip(SKIP_1) | instid1(VALU_DEP_3)
	v_mul_lo_u32 v5, v0, s56
	v_mul_lo_u32 v7, v0, s57
	v_mul_hi_u32 v4, s55, v3
	s_delay_alu instid0(VALU_DEP_1) | instskip(NEXT) | instid1(VALU_DEP_1)
	v_add_nc_u32_e32 v4, v3, v4
	v_lshrrev_b32_e32 v4, s8, v4
	s_delay_alu instid0(VALU_DEP_1) | instskip(SKIP_1) | instid1(VALU_DEP_2)
	v_mul_hi_u32 v6, s10, v4
	v_mul_lo_u32 v8, v4, s54
	v_add_nc_u32_e32 v0, v4, v6
	v_mul_lo_u32 v6, v3, s51
	s_delay_alu instid0(VALU_DEP_3) | instskip(NEXT) | instid1(VALU_DEP_3)
	v_sub_nc_u32_e32 v3, v3, v8
	v_lshrrev_b32_e32 v0, s11, v0
	s_delay_alu instid0(VALU_DEP_2) | instskip(SKIP_2) | instid1(VALU_DEP_4)
	v_mul_lo_u32 v8, v3, s60
	v_mul_lo_u32 v3, v3, s61
	v_sub_nc_u32_e32 v1, v1, v6
	v_mul_lo_u32 v9, v0, s9
	s_delay_alu instid0(VALU_DEP_2) | instskip(SKIP_1) | instid1(VALU_DEP_3)
	v_mul_lo_u32 v6, v1, s58
	v_mul_lo_u32 v1, v1, s59
	v_sub_nc_u32_e32 v4, v4, v9
	s_delay_alu instid0(VALU_DEP_3) | instskip(NEXT) | instid1(VALU_DEP_2)
	v_add3_u32 v5, v5, v29, v6
	v_mul_lo_u32 v9, v4, s62
	v_mul_lo_u32 v4, v4, s63
	v_add3_u32 v1, v7, v2, v1
	s_delay_alu instid0(VALU_DEP_3) | instskip(NEXT) | instid1(VALU_DEP_2)
	v_add3_u32 v29, v8, v5, v9
	v_add3_u32 v2, v3, v1, v4
	s_cbranch_scc0 .LBB11_140
	s_branch .LBB11_713
.LBB11_141:
	s_or_b32 exec_lo, exec_lo, s45
	s_mov_b32 s0, 0
	s_and_saveexec_b32 s2, s44
	s_cbranch_execnz .LBB11_1102
.LBB11_142:
	s_or_b32 exec_lo, exec_lo, s2
	s_and_saveexec_b32 s2, s46
	s_delay_alu instid0(SALU_CYCLE_1)
	s_xor_b32 s2, exec_lo, s2
	s_cbranch_execz .LBB11_144
.LBB11_143:
	v_cmp_neq_f64_e32 vcc_lo, 0, v[0:1]
	v_cndmask_b32_e64 v2, 0, 1, vcc_lo
	global_store_b8 v[4:5], v2, off
.LBB11_144:
	s_or_b32 exec_lo, exec_lo, s2
	s_and_saveexec_b32 s2, s1
	s_delay_alu instid0(SALU_CYCLE_1)
	s_xor_b32 s1, exec_lo, s2
	s_cbranch_execz .LBB11_182
; %bb.145:
	v_cmp_gt_i16_e32 vcc_lo, 5, v6
	s_mov_b32 s2, -1
	s_cbranch_vccnz .LBB11_166
; %bb.146:
	v_cmp_gt_i16_e32 vcc_lo, 8, v6
	s_cbranch_vccnz .LBB11_156
; %bb.147:
	v_cmp_gt_i16_e32 vcc_lo, 9, v6
	s_cbranch_vccnz .LBB11_153
; %bb.148:
	v_cmp_lt_i16_e32 vcc_lo, 9, v6
	s_cbranch_vccz .LBB11_150
; %bb.149:
	v_mov_b32_e32 v2, 0
	s_mov_b32 s2, 0
	s_delay_alu instid0(VALU_DEP_1)
	v_mov_b32_e32 v3, v2
	global_store_b128 v[4:5], v[0:3], off
.LBB11_150:
	s_and_not1_b32 vcc_lo, exec_lo, s2
	s_cbranch_vccnz .LBB11_152
; %bb.151:
	v_cvt_f32_f64_e32 v2, v[0:1]
	v_mov_b32_e32 v3, 0
	global_store_b64 v[4:5], v[2:3], off
.LBB11_152:
	s_mov_b32 s2, 0
.LBB11_153:
	s_delay_alu instid0(SALU_CYCLE_1)
	s_and_not1_b32 vcc_lo, exec_lo, s2
	s_cbranch_vccnz .LBB11_155
; %bb.154:
	v_cvt_f32_f64_e32 v2, v[0:1]
	s_delay_alu instid0(VALU_DEP_1) | instskip(NEXT) | instid1(VALU_DEP_1)
	v_cvt_f16_f32_e32 v2, v2
	v_and_b32_e32 v2, 0xffff, v2
	global_store_b32 v[4:5], v2, off
.LBB11_155:
	s_mov_b32 s2, 0
.LBB11_156:
	s_delay_alu instid0(SALU_CYCLE_1)
	s_and_not1_b32 vcc_lo, exec_lo, s2
	s_cbranch_vccnz .LBB11_165
; %bb.157:
	v_cmp_gt_i16_e32 vcc_lo, 6, v6
	s_mov_b32 s2, -1
	s_cbranch_vccnz .LBB11_163
; %bb.158:
	v_cmp_lt_i16_e32 vcc_lo, 6, v6
	s_cbranch_vccz .LBB11_160
; %bb.159:
	s_mov_b32 s2, 0
	global_store_b64 v[4:5], v[0:1], off
.LBB11_160:
	s_and_not1_b32 vcc_lo, exec_lo, s2
	s_cbranch_vccnz .LBB11_162
; %bb.161:
	v_cvt_f32_f64_e32 v2, v[0:1]
	global_store_b32 v[4:5], v2, off
.LBB11_162:
	s_mov_b32 s2, 0
.LBB11_163:
	s_delay_alu instid0(SALU_CYCLE_1)
	s_and_not1_b32 vcc_lo, exec_lo, s2
	s_cbranch_vccnz .LBB11_165
; %bb.164:
	v_cvt_f32_f64_e32 v2, v[0:1]
	s_delay_alu instid0(VALU_DEP_1)
	v_cvt_f16_f32_e32 v2, v2
	global_store_b16 v[4:5], v2, off
.LBB11_165:
	s_mov_b32 s2, 0
.LBB11_166:
	s_delay_alu instid0(SALU_CYCLE_1)
	s_and_not1_b32 vcc_lo, exec_lo, s2
	s_cbranch_vccnz .LBB11_182
; %bb.167:
	v_cmp_gt_i16_e32 vcc_lo, 2, v6
	s_mov_b32 s2, -1
	s_cbranch_vccnz .LBB11_177
; %bb.168:
	v_cmp_gt_i16_e32 vcc_lo, 3, v6
	s_cbranch_vccnz .LBB11_174
; %bb.169:
	v_cmp_lt_i16_e32 vcc_lo, 3, v6
	s_cbranch_vccz .LBB11_171
; %bb.170:
	v_trunc_f64_e32 v[2:3], v[0:1]
	s_mov_b32 s2, 0
	s_delay_alu instid0(VALU_DEP_1) | instskip(NEXT) | instid1(VALU_DEP_1)
	v_ldexp_f64 v[7:8], v[2:3], 0xffffffe0
	v_floor_f64_e32 v[7:8], v[7:8]
	s_delay_alu instid0(VALU_DEP_1) | instskip(SKIP_1) | instid1(VALU_DEP_2)
	v_fma_f64 v[2:3], 0xc1f00000, v[7:8], v[2:3]
	v_cvt_i32_f64_e32 v8, v[7:8]
	v_cvt_u32_f64_e32 v7, v[2:3]
	global_store_b64 v[4:5], v[7:8], off
.LBB11_171:
	s_and_not1_b32 vcc_lo, exec_lo, s2
	s_cbranch_vccnz .LBB11_173
; %bb.172:
	v_cvt_i32_f64_e32 v2, v[0:1]
	global_store_b32 v[4:5], v2, off
.LBB11_173:
	s_mov_b32 s2, 0
.LBB11_174:
	s_delay_alu instid0(SALU_CYCLE_1)
	s_and_not1_b32 vcc_lo, exec_lo, s2
	s_cbranch_vccnz .LBB11_176
; %bb.175:
	v_cvt_i32_f64_e32 v2, v[0:1]
	global_store_b16 v[4:5], v2, off
.LBB11_176:
	s_mov_b32 s2, 0
.LBB11_177:
	s_delay_alu instid0(SALU_CYCLE_1)
	s_and_not1_b32 vcc_lo, exec_lo, s2
	s_cbranch_vccnz .LBB11_182
; %bb.178:
	v_cmp_lt_i16_e32 vcc_lo, 0, v6
	s_mov_b32 s2, -1
	s_cbranch_vccz .LBB11_180
; %bb.179:
	v_cvt_i32_f64_e32 v2, v[0:1]
	s_mov_b32 s2, 0
	global_store_b8 v[4:5], v2, off
.LBB11_180:
	s_and_not1_b32 vcc_lo, exec_lo, s2
	s_cbranch_vccnz .LBB11_182
; %bb.181:
	v_trunc_f64_e32 v[0:1], v[0:1]
	s_delay_alu instid0(VALU_DEP_1) | instskip(NEXT) | instid1(VALU_DEP_1)
	v_ldexp_f64 v[2:3], v[0:1], 0xffffffe0
	v_floor_f64_e32 v[2:3], v[2:3]
	s_delay_alu instid0(VALU_DEP_1) | instskip(NEXT) | instid1(VALU_DEP_1)
	v_fma_f64 v[0:1], 0xc1f00000, v[2:3], v[0:1]
	v_cvt_u32_f64_e32 v0, v[0:1]
	global_store_b8 v[4:5], v0, off
.LBB11_182:
	s_or_b32 exec_lo, exec_lo, s1
	s_waitcnt lgkmcnt(0)
	s_and_b32 s16, s0, exec_lo
                                        ; implicit-def: $vgpr3
                                        ; implicit-def: $vgpr30
.LBB11_183:
	s_or_saveexec_b32 s17, s39
	s_mov_b32 s0, 0
                                        ; implicit-def: $vgpr6
                                        ; implicit-def: $vgpr4_vgpr5
                                        ; implicit-def: $vgpr0_vgpr1
	s_xor_b32 exec_lo, exec_lo, s17
	s_cbranch_execz .LBB11_668
; %bb.184:
	v_cndmask_b32_e64 v0, 0, 1, s38
	s_and_not1_b32 vcc_lo, exec_lo, s38
	s_cbranch_vccnz .LBB11_190
; %bb.185:
	v_dual_mov_b32 v35, 0 :: v_dual_mov_b32 v2, 0
	s_cmp_lg_u32 s33, 0
	s_mov_b32 s4, 0
	s_cbranch_scc0 .LBB11_194
; %bb.186:
	s_min_u32 s5, s36, 15
	v_mov_b32_e32 v35, 0
	s_add_i32 s5, s5, 1
	s_cmp_eq_u32 s36, 2
	s_mov_b32 s6, 0
	s_cbranch_scc1 .LBB11_191
; %bb.187:
	v_dual_mov_b32 v2, 0 :: v_dual_mov_b32 v35, 0
	v_mov_b32_e32 v1, v30
	s_add_u32 s0, s14, 0xc4
	s_addc_u32 s1, s15, 0
	s_and_b32 s6, s5, 28
	s_mov_b32 s7, 0
	s_mov_b64 s[2:3], s[14:15]
.LBB11_188:                             ; =>This Inner Loop Header: Depth=1
	s_clause 0x1
	s_load_b256 s[20:27], s[2:3], 0x4
	s_load_b128 s[8:11], s[2:3], 0x24
	s_load_b256 s[40:47], s[0:1], 0x0
	s_add_u32 s2, s2, 48
	s_addc_u32 s3, s3, 0
	s_add_i32 s7, s7, 4
	s_add_u32 s0, s0, 32
	s_addc_u32 s1, s1, 0
	s_cmp_lg_u32 s6, s7
	s_waitcnt lgkmcnt(0)
	v_mul_hi_u32 v4, s21, v1
	s_delay_alu instid0(VALU_DEP_1) | instskip(NEXT) | instid1(VALU_DEP_1)
	v_add_nc_u32_e32 v4, v1, v4
	v_lshrrev_b32_e32 v4, s22, v4
	s_delay_alu instid0(VALU_DEP_1) | instskip(SKIP_1) | instid1(VALU_DEP_2)
	v_mul_hi_u32 v5, s24, v4
	v_mul_lo_u32 v7, v4, s20
	v_add_nc_u32_e32 v5, v4, v5
	s_delay_alu instid0(VALU_DEP_2) | instskip(NEXT) | instid1(VALU_DEP_2)
	v_sub_nc_u32_e32 v1, v1, v7
	v_lshrrev_b32_e32 v5, s25, v5
	s_delay_alu instid0(VALU_DEP_2) | instskip(SKIP_1) | instid1(VALU_DEP_3)
	v_mul_lo_u32 v7, v1, s40
	v_mul_lo_u32 v9, v1, s41
	v_mul_hi_u32 v6, s27, v5
	s_delay_alu instid0(VALU_DEP_1) | instskip(NEXT) | instid1(VALU_DEP_1)
	v_add_nc_u32_e32 v6, v5, v6
	v_lshrrev_b32_e32 v6, s8, v6
	s_delay_alu instid0(VALU_DEP_1) | instskip(SKIP_1) | instid1(VALU_DEP_2)
	v_mul_hi_u32 v8, s10, v6
	v_mul_lo_u32 v10, v6, s26
	v_add_nc_u32_e32 v1, v6, v8
	v_mul_lo_u32 v8, v5, s23
	s_delay_alu instid0(VALU_DEP_3) | instskip(NEXT) | instid1(VALU_DEP_3)
	v_sub_nc_u32_e32 v5, v5, v10
	v_lshrrev_b32_e32 v1, s11, v1
	s_delay_alu instid0(VALU_DEP_2) | instskip(SKIP_2) | instid1(VALU_DEP_4)
	v_mul_lo_u32 v10, v5, s44
	v_mul_lo_u32 v5, v5, s45
	v_sub_nc_u32_e32 v4, v4, v8
	v_mul_lo_u32 v11, v1, s9
	s_delay_alu instid0(VALU_DEP_2) | instskip(SKIP_1) | instid1(VALU_DEP_3)
	v_mul_lo_u32 v8, v4, s42
	v_mul_lo_u32 v4, v4, s43
	v_sub_nc_u32_e32 v6, v6, v11
	s_delay_alu instid0(VALU_DEP_3) | instskip(NEXT) | instid1(VALU_DEP_2)
	v_add3_u32 v7, v7, v35, v8
	v_mul_lo_u32 v11, v6, s46
	v_mul_lo_u32 v6, v6, s47
	v_add3_u32 v2, v9, v2, v4
	s_delay_alu instid0(VALU_DEP_3) | instskip(NEXT) | instid1(VALU_DEP_2)
	v_add3_u32 v35, v10, v7, v11
	v_add3_u32 v2, v5, v2, v6
	s_cbranch_scc1 .LBB11_188
; %bb.189:
	s_and_b32 s5, s5, 3
	s_delay_alu instid0(SALU_CYCLE_1)
	s_cmp_eq_u32 s5, 0
	s_cbranch_scc0 .LBB11_192
	s_branch .LBB11_194
.LBB11_190:
	s_mov_b32 s4, -1
                                        ; implicit-def: $vgpr35
                                        ; implicit-def: $vgpr2
	s_branch .LBB11_194
.LBB11_191:
	v_dual_mov_b32 v1, v30 :: v_dual_mov_b32 v2, 0
	s_and_b32 s5, s5, 3
	s_delay_alu instid0(SALU_CYCLE_1)
	s_cmp_eq_u32 s5, 0
	s_cbranch_scc1 .LBB11_194
.LBB11_192:
	s_lshl_b32 s0, s6, 3
	s_mul_i32 s2, s6, 12
	s_add_u32 s0, s0, s14
	s_addc_u32 s1, 0, s15
	s_add_u32 s0, s0, 0xc4
	s_addc_u32 s1, s1, 0
	;; [unrolled: 2-line block ×3, first 2 shown]
	.p2align	6
.LBB11_193:                             ; =>This Inner Loop Header: Depth=1
	s_clause 0x1
	s_load_b64 s[6:7], s[2:3], 0x4
	s_load_b32 s10, s[2:3], 0xc
	s_load_b64 s[8:9], s[0:1], 0x0
	s_add_u32 s2, s2, 12
	s_addc_u32 s3, s3, 0
	s_add_u32 s0, s0, 8
	s_addc_u32 s1, s1, 0
	s_add_i32 s5, s5, -1
	s_delay_alu instid0(SALU_CYCLE_1) | instskip(SKIP_2) | instid1(VALU_DEP_1)
	s_cmp_lg_u32 s5, 0
	s_waitcnt lgkmcnt(0)
	v_mul_hi_u32 v4, s7, v1
	v_add_nc_u32_e32 v4, v1, v4
	s_delay_alu instid0(VALU_DEP_1) | instskip(NEXT) | instid1(VALU_DEP_1)
	v_lshrrev_b32_e32 v7, s10, v4
	v_mul_lo_u32 v4, v7, s6
	s_delay_alu instid0(VALU_DEP_1) | instskip(NEXT) | instid1(VALU_DEP_1)
	v_sub_nc_u32_e32 v1, v1, v4
	v_mad_u64_u32 v[4:5], null, v1, s8, v[35:36]
	v_mad_u64_u32 v[5:6], null, v1, s9, v[2:3]
	v_mov_b32_e32 v1, v7
	s_delay_alu instid0(VALU_DEP_2)
	v_dual_mov_b32 v35, v4 :: v_dual_mov_b32 v2, v5
	s_cbranch_scc1 .LBB11_193
.LBB11_194:
	s_and_not1_b32 vcc_lo, exec_lo, s4
	s_cbranch_vccnz .LBB11_197
; %bb.195:
	s_clause 0x1
	s_load_b128 s[0:3], s[14:15], 0x4
	s_load_b64 s[4:5], s[14:15], 0xc4
	s_cmp_lt_u32 s33, 2
	s_waitcnt lgkmcnt(0)
	v_mul_hi_u32 v1, s1, v30
	s_delay_alu instid0(VALU_DEP_1) | instskip(NEXT) | instid1(VALU_DEP_1)
	v_add_nc_u32_e32 v1, v30, v1
	v_lshrrev_b32_e32 v1, s2, v1
	s_delay_alu instid0(VALU_DEP_1) | instskip(NEXT) | instid1(VALU_DEP_1)
	v_mul_lo_u32 v2, v1, s0
	v_sub_nc_u32_e32 v2, v30, v2
	s_delay_alu instid0(VALU_DEP_1)
	v_mul_lo_u32 v35, v2, s4
	v_mul_lo_u32 v2, v2, s5
	s_cbranch_scc1 .LBB11_197
; %bb.196:
	s_clause 0x1
	s_load_b128 s[0:3], s[14:15], 0x10
	s_load_b64 s[4:5], s[14:15], 0xcc
	s_waitcnt lgkmcnt(0)
	v_mul_hi_u32 v4, s1, v1
	s_delay_alu instid0(VALU_DEP_1) | instskip(NEXT) | instid1(VALU_DEP_1)
	v_add_nc_u32_e32 v4, v1, v4
	v_lshrrev_b32_e32 v4, s2, v4
	s_delay_alu instid0(VALU_DEP_1) | instskip(NEXT) | instid1(VALU_DEP_1)
	v_mul_lo_u32 v4, v4, s0
	v_sub_nc_u32_e32 v1, v1, v4
	s_delay_alu instid0(VALU_DEP_1) | instskip(SKIP_1) | instid1(VALU_DEP_1)
	v_mad_u64_u32 v[4:5], null, v1, s4, v[35:36]
	v_mad_u64_u32 v[5:6], null, v1, s5, v[2:3]
	v_dual_mov_b32 v35, v4 :: v_dual_mov_b32 v2, v5
.LBB11_197:
	v_cmp_ne_u32_e32 vcc_lo, 1, v0
	v_add_nc_u32_e32 v1, 0x80, v30
	s_cbranch_vccnz .LBB11_203
; %bb.198:
	v_mov_b32_e32 v38, 0
	v_mov_b32_e32 v28, 0
	s_cmp_lg_u32 s33, 0
	s_mov_b32 s4, 0
	s_cbranch_scc0 .LBB11_207
; %bb.199:
	s_min_u32 s5, s36, 15
	v_mov_b32_e32 v38, 0
	s_add_i32 s5, s5, 1
	s_cmp_eq_u32 s36, 2
	s_mov_b32 s6, 0
	s_cbranch_scc1 .LBB11_204
; %bb.200:
	v_mov_b32_e32 v28, 0
	v_mov_b32_e32 v38, 0
	;; [unrolled: 1-line block ×3, first 2 shown]
	s_add_u32 s0, s14, 0xc4
	s_addc_u32 s1, s15, 0
	s_and_b32 s6, s5, 28
	s_mov_b32 s7, 0
	s_mov_b64 s[2:3], s[14:15]
.LBB11_201:                             ; =>This Inner Loop Header: Depth=1
	s_clause 0x1
	s_load_b256 s[20:27], s[2:3], 0x4
	s_load_b128 s[8:11], s[2:3], 0x24
	s_load_b256 s[40:47], s[0:1], 0x0
	s_add_u32 s2, s2, 48
	s_addc_u32 s3, s3, 0
	s_add_i32 s7, s7, 4
	s_add_u32 s0, s0, 32
	s_addc_u32 s1, s1, 0
	s_cmp_lg_u32 s6, s7
	s_waitcnt lgkmcnt(0)
	v_mul_hi_u32 v5, s21, v4
	s_delay_alu instid0(VALU_DEP_1) | instskip(NEXT) | instid1(VALU_DEP_1)
	v_add_nc_u32_e32 v5, v4, v5
	v_lshrrev_b32_e32 v5, s22, v5
	s_delay_alu instid0(VALU_DEP_1) | instskip(SKIP_1) | instid1(VALU_DEP_2)
	v_mul_hi_u32 v6, s24, v5
	v_mul_lo_u32 v8, v5, s20
	v_add_nc_u32_e32 v6, v5, v6
	s_delay_alu instid0(VALU_DEP_2) | instskip(NEXT) | instid1(VALU_DEP_2)
	v_sub_nc_u32_e32 v4, v4, v8
	v_lshrrev_b32_e32 v6, s25, v6
	s_delay_alu instid0(VALU_DEP_2) | instskip(SKIP_1) | instid1(VALU_DEP_3)
	v_mul_lo_u32 v8, v4, s40
	v_mul_lo_u32 v10, v4, s41
	v_mul_hi_u32 v7, s27, v6
	s_delay_alu instid0(VALU_DEP_1) | instskip(NEXT) | instid1(VALU_DEP_1)
	v_add_nc_u32_e32 v7, v6, v7
	v_lshrrev_b32_e32 v7, s8, v7
	s_delay_alu instid0(VALU_DEP_1) | instskip(SKIP_1) | instid1(VALU_DEP_2)
	v_mul_hi_u32 v9, s10, v7
	v_mul_lo_u32 v11, v7, s26
	v_add_nc_u32_e32 v4, v7, v9
	v_mul_lo_u32 v9, v6, s23
	s_delay_alu instid0(VALU_DEP_3) | instskip(NEXT) | instid1(VALU_DEP_3)
	v_sub_nc_u32_e32 v6, v6, v11
	v_lshrrev_b32_e32 v4, s11, v4
	s_delay_alu instid0(VALU_DEP_2) | instskip(SKIP_2) | instid1(VALU_DEP_4)
	v_mul_lo_u32 v11, v6, s44
	v_mul_lo_u32 v6, v6, s45
	v_sub_nc_u32_e32 v5, v5, v9
	v_mul_lo_u32 v12, v4, s9
	s_delay_alu instid0(VALU_DEP_2) | instskip(SKIP_1) | instid1(VALU_DEP_3)
	v_mul_lo_u32 v9, v5, s42
	v_mul_lo_u32 v5, v5, s43
	v_sub_nc_u32_e32 v7, v7, v12
	s_delay_alu instid0(VALU_DEP_3) | instskip(NEXT) | instid1(VALU_DEP_2)
	v_add3_u32 v8, v8, v38, v9
	v_mul_lo_u32 v12, v7, s46
	v_mul_lo_u32 v7, v7, s47
	v_add3_u32 v5, v10, v28, v5
	s_delay_alu instid0(VALU_DEP_3) | instskip(NEXT) | instid1(VALU_DEP_2)
	v_add3_u32 v38, v11, v8, v12
	v_add3_u32 v28, v6, v5, v7
	s_cbranch_scc1 .LBB11_201
; %bb.202:
	s_and_b32 s5, s5, 3
	s_delay_alu instid0(SALU_CYCLE_1)
	s_cmp_eq_u32 s5, 0
	s_cbranch_scc0 .LBB11_205
	s_branch .LBB11_207
.LBB11_203:
	s_mov_b32 s4, -1
                                        ; implicit-def: $vgpr38
                                        ; implicit-def: $vgpr28
	s_branch .LBB11_207
.LBB11_204:
	v_mov_b32_e32 v4, v1
	v_mov_b32_e32 v28, 0
	s_and_b32 s5, s5, 3
	s_delay_alu instid0(SALU_CYCLE_1)
	s_cmp_eq_u32 s5, 0
	s_cbranch_scc1 .LBB11_207
.LBB11_205:
	s_lshl_b32 s0, s6, 3
	s_mul_i32 s2, s6, 12
	s_add_u32 s0, s0, s14
	s_addc_u32 s1, 0, s15
	s_add_u32 s0, s0, 0xc4
	s_addc_u32 s1, s1, 0
	;; [unrolled: 2-line block ×3, first 2 shown]
	.p2align	6
.LBB11_206:                             ; =>This Inner Loop Header: Depth=1
	s_clause 0x1
	s_load_b64 s[6:7], s[2:3], 0x4
	s_load_b32 s10, s[2:3], 0xc
	s_load_b64 s[8:9], s[0:1], 0x0
	s_add_u32 s2, s2, 12
	s_addc_u32 s3, s3, 0
	s_add_u32 s0, s0, 8
	s_addc_u32 s1, s1, 0
	s_add_i32 s5, s5, -1
	s_delay_alu instid0(SALU_CYCLE_1) | instskip(SKIP_2) | instid1(VALU_DEP_1)
	s_cmp_lg_u32 s5, 0
	s_waitcnt lgkmcnt(0)
	v_mul_hi_u32 v5, s7, v4
	v_add_nc_u32_e32 v5, v4, v5
	s_delay_alu instid0(VALU_DEP_1) | instskip(NEXT) | instid1(VALU_DEP_1)
	v_lshrrev_b32_e32 v8, s10, v5
	v_mul_lo_u32 v5, v8, s6
	s_delay_alu instid0(VALU_DEP_1) | instskip(NEXT) | instid1(VALU_DEP_1)
	v_sub_nc_u32_e32 v4, v4, v5
	v_mad_u64_u32 v[5:6], null, v4, s8, v[38:39]
	v_mad_u64_u32 v[6:7], null, v4, s9, v[28:29]
	v_mov_b32_e32 v4, v8
	s_delay_alu instid0(VALU_DEP_3) | instskip(NEXT) | instid1(VALU_DEP_3)
	v_mov_b32_e32 v38, v5
	v_mov_b32_e32 v28, v6
	s_cbranch_scc1 .LBB11_206
.LBB11_207:
	s_and_not1_b32 vcc_lo, exec_lo, s4
	s_cbranch_vccnz .LBB11_210
; %bb.208:
	s_clause 0x1
	s_load_b128 s[0:3], s[14:15], 0x4
	s_load_b64 s[4:5], s[14:15], 0xc4
	s_cmp_lt_u32 s33, 2
	s_waitcnt lgkmcnt(0)
	v_mul_hi_u32 v4, s1, v1
	s_delay_alu instid0(VALU_DEP_1) | instskip(NEXT) | instid1(VALU_DEP_1)
	v_add_nc_u32_e32 v4, v1, v4
	v_lshrrev_b32_e32 v4, s2, v4
	s_delay_alu instid0(VALU_DEP_1) | instskip(NEXT) | instid1(VALU_DEP_1)
	v_mul_lo_u32 v5, v4, s0
	v_sub_nc_u32_e32 v1, v1, v5
	s_delay_alu instid0(VALU_DEP_1)
	v_mul_lo_u32 v38, v1, s4
	v_mul_lo_u32 v28, v1, s5
	s_cbranch_scc1 .LBB11_210
; %bb.209:
	s_clause 0x1
	s_load_b128 s[0:3], s[14:15], 0x10
	s_load_b64 s[4:5], s[14:15], 0xcc
	s_waitcnt lgkmcnt(0)
	v_mul_hi_u32 v1, s1, v4
	s_delay_alu instid0(VALU_DEP_1) | instskip(NEXT) | instid1(VALU_DEP_1)
	v_add_nc_u32_e32 v1, v4, v1
	v_lshrrev_b32_e32 v1, s2, v1
	s_delay_alu instid0(VALU_DEP_1) | instskip(NEXT) | instid1(VALU_DEP_1)
	v_mul_lo_u32 v1, v1, s0
	v_sub_nc_u32_e32 v1, v4, v1
	s_delay_alu instid0(VALU_DEP_1) | instskip(SKIP_1) | instid1(VALU_DEP_2)
	v_mad_u64_u32 v[4:5], null, v1, s4, v[38:39]
	v_mad_u64_u32 v[5:6], null, v1, s5, v[28:29]
	v_mov_b32_e32 v38, v4
	s_delay_alu instid0(VALU_DEP_2)
	v_mov_b32_e32 v28, v5
.LBB11_210:
	v_cmp_ne_u32_e32 vcc_lo, 1, v0
	v_add_nc_u32_e32 v1, 0x100, v30
	s_cbranch_vccnz .LBB11_216
; %bb.211:
	v_mov_b32_e32 v37, 0
	v_mov_b32_e32 v29, 0
	s_cmp_lg_u32 s33, 0
	s_mov_b32 s4, 0
	s_cbranch_scc0 .LBB11_220
; %bb.212:
	s_min_u32 s5, s36, 15
	v_mov_b32_e32 v37, 0
	s_add_i32 s5, s5, 1
	s_cmp_eq_u32 s36, 2
	s_mov_b32 s6, 0
	s_cbranch_scc1 .LBB11_217
; %bb.213:
	v_dual_mov_b32 v29, 0 :: v_dual_mov_b32 v4, v1
	v_mov_b32_e32 v37, 0
	s_add_u32 s0, s14, 0xc4
	s_addc_u32 s1, s15, 0
	s_and_b32 s6, s5, 28
	s_mov_b32 s7, 0
	s_mov_b64 s[2:3], s[14:15]
.LBB11_214:                             ; =>This Inner Loop Header: Depth=1
	s_clause 0x1
	s_load_b256 s[20:27], s[2:3], 0x4
	s_load_b128 s[8:11], s[2:3], 0x24
	s_load_b256 s[40:47], s[0:1], 0x0
	s_add_u32 s2, s2, 48
	s_addc_u32 s3, s3, 0
	s_add_i32 s7, s7, 4
	s_add_u32 s0, s0, 32
	s_addc_u32 s1, s1, 0
	s_cmp_lg_u32 s6, s7
	s_waitcnt lgkmcnt(0)
	v_mul_hi_u32 v5, s21, v4
	s_delay_alu instid0(VALU_DEP_1) | instskip(NEXT) | instid1(VALU_DEP_1)
	v_add_nc_u32_e32 v5, v4, v5
	v_lshrrev_b32_e32 v5, s22, v5
	s_delay_alu instid0(VALU_DEP_1) | instskip(SKIP_1) | instid1(VALU_DEP_2)
	v_mul_hi_u32 v6, s24, v5
	v_mul_lo_u32 v8, v5, s20
	v_add_nc_u32_e32 v6, v5, v6
	s_delay_alu instid0(VALU_DEP_2) | instskip(NEXT) | instid1(VALU_DEP_2)
	v_sub_nc_u32_e32 v4, v4, v8
	v_lshrrev_b32_e32 v6, s25, v6
	s_delay_alu instid0(VALU_DEP_2) | instskip(SKIP_1) | instid1(VALU_DEP_3)
	v_mul_lo_u32 v8, v4, s40
	v_mul_lo_u32 v10, v4, s41
	v_mul_hi_u32 v7, s27, v6
	s_delay_alu instid0(VALU_DEP_1) | instskip(NEXT) | instid1(VALU_DEP_1)
	v_add_nc_u32_e32 v7, v6, v7
	v_lshrrev_b32_e32 v7, s8, v7
	s_delay_alu instid0(VALU_DEP_1) | instskip(SKIP_1) | instid1(VALU_DEP_2)
	v_mul_hi_u32 v9, s10, v7
	v_mul_lo_u32 v11, v7, s26
	v_add_nc_u32_e32 v4, v7, v9
	v_mul_lo_u32 v9, v6, s23
	s_delay_alu instid0(VALU_DEP_3) | instskip(NEXT) | instid1(VALU_DEP_3)
	v_sub_nc_u32_e32 v6, v6, v11
	v_lshrrev_b32_e32 v4, s11, v4
	s_delay_alu instid0(VALU_DEP_2) | instskip(SKIP_2) | instid1(VALU_DEP_4)
	v_mul_lo_u32 v11, v6, s44
	v_mul_lo_u32 v6, v6, s45
	v_sub_nc_u32_e32 v5, v5, v9
	v_mul_lo_u32 v12, v4, s9
	s_delay_alu instid0(VALU_DEP_2) | instskip(SKIP_1) | instid1(VALU_DEP_3)
	v_mul_lo_u32 v9, v5, s42
	v_mul_lo_u32 v5, v5, s43
	v_sub_nc_u32_e32 v7, v7, v12
	s_delay_alu instid0(VALU_DEP_3) | instskip(NEXT) | instid1(VALU_DEP_2)
	v_add3_u32 v8, v8, v37, v9
	v_mul_lo_u32 v12, v7, s46
	v_mul_lo_u32 v7, v7, s47
	v_add3_u32 v5, v10, v29, v5
	s_delay_alu instid0(VALU_DEP_3) | instskip(NEXT) | instid1(VALU_DEP_2)
	v_add3_u32 v37, v11, v8, v12
	v_add3_u32 v29, v6, v5, v7
	s_cbranch_scc1 .LBB11_214
; %bb.215:
	s_and_b32 s5, s5, 3
	s_delay_alu instid0(SALU_CYCLE_1)
	s_cmp_eq_u32 s5, 0
	s_cbranch_scc0 .LBB11_218
	s_branch .LBB11_220
.LBB11_216:
	s_mov_b32 s4, -1
                                        ; implicit-def: $vgpr37
                                        ; implicit-def: $vgpr29
	s_branch .LBB11_220
.LBB11_217:
	v_dual_mov_b32 v4, v1 :: v_dual_mov_b32 v29, 0
	s_and_b32 s5, s5, 3
	s_delay_alu instid0(SALU_CYCLE_1)
	s_cmp_eq_u32 s5, 0
	s_cbranch_scc1 .LBB11_220
.LBB11_218:
	s_lshl_b32 s0, s6, 3
	s_mul_i32 s2, s6, 12
	s_add_u32 s0, s0, s14
	s_addc_u32 s1, 0, s15
	s_add_u32 s0, s0, 0xc4
	s_addc_u32 s1, s1, 0
	;; [unrolled: 2-line block ×3, first 2 shown]
	.p2align	6
.LBB11_219:                             ; =>This Inner Loop Header: Depth=1
	s_clause 0x1
	s_load_b64 s[6:7], s[2:3], 0x4
	s_load_b32 s10, s[2:3], 0xc
	s_load_b64 s[8:9], s[0:1], 0x0
	s_add_u32 s2, s2, 12
	s_addc_u32 s3, s3, 0
	s_add_u32 s0, s0, 8
	s_addc_u32 s1, s1, 0
	s_add_i32 s5, s5, -1
	s_delay_alu instid0(SALU_CYCLE_1) | instskip(SKIP_2) | instid1(VALU_DEP_1)
	s_cmp_lg_u32 s5, 0
	s_waitcnt lgkmcnt(0)
	v_mul_hi_u32 v5, s7, v4
	v_add_nc_u32_e32 v5, v4, v5
	s_delay_alu instid0(VALU_DEP_1) | instskip(NEXT) | instid1(VALU_DEP_1)
	v_lshrrev_b32_e32 v8, s10, v5
	v_mul_lo_u32 v5, v8, s6
	s_delay_alu instid0(VALU_DEP_1) | instskip(NEXT) | instid1(VALU_DEP_1)
	v_sub_nc_u32_e32 v4, v4, v5
	v_mad_u64_u32 v[5:6], null, v4, s8, v[37:38]
	v_mad_u64_u32 v[6:7], null, v4, s9, v[29:30]
	s_delay_alu instid0(VALU_DEP_2) | instskip(NEXT) | instid1(VALU_DEP_2)
	v_dual_mov_b32 v4, v8 :: v_dual_mov_b32 v37, v5
	v_mov_b32_e32 v29, v6
	s_cbranch_scc1 .LBB11_219
.LBB11_220:
	s_and_not1_b32 vcc_lo, exec_lo, s4
	s_cbranch_vccnz .LBB11_223
; %bb.221:
	s_clause 0x1
	s_load_b128 s[0:3], s[14:15], 0x4
	s_load_b64 s[4:5], s[14:15], 0xc4
	s_cmp_lt_u32 s33, 2
	s_waitcnt lgkmcnt(0)
	v_mul_hi_u32 v4, s1, v1
	s_delay_alu instid0(VALU_DEP_1) | instskip(NEXT) | instid1(VALU_DEP_1)
	v_add_nc_u32_e32 v4, v1, v4
	v_lshrrev_b32_e32 v4, s2, v4
	s_delay_alu instid0(VALU_DEP_1) | instskip(NEXT) | instid1(VALU_DEP_1)
	v_mul_lo_u32 v5, v4, s0
	v_sub_nc_u32_e32 v1, v1, v5
	s_delay_alu instid0(VALU_DEP_1)
	v_mul_lo_u32 v37, v1, s4
	v_mul_lo_u32 v29, v1, s5
	s_cbranch_scc1 .LBB11_223
; %bb.222:
	s_clause 0x1
	s_load_b128 s[0:3], s[14:15], 0x10
	s_load_b64 s[4:5], s[14:15], 0xcc
	s_waitcnt lgkmcnt(0)
	v_mul_hi_u32 v1, s1, v4
	s_delay_alu instid0(VALU_DEP_1) | instskip(NEXT) | instid1(VALU_DEP_1)
	v_add_nc_u32_e32 v1, v4, v1
	v_lshrrev_b32_e32 v1, s2, v1
	s_delay_alu instid0(VALU_DEP_1) | instskip(NEXT) | instid1(VALU_DEP_1)
	v_mul_lo_u32 v1, v1, s0
	v_sub_nc_u32_e32 v1, v4, v1
	s_delay_alu instid0(VALU_DEP_1) | instskip(SKIP_1) | instid1(VALU_DEP_2)
	v_mad_u64_u32 v[4:5], null, v1, s4, v[37:38]
	v_mad_u64_u32 v[5:6], null, v1, s5, v[29:30]
	v_mov_b32_e32 v37, v4
	s_delay_alu instid0(VALU_DEP_2)
	v_mov_b32_e32 v29, v5
.LBB11_223:
	v_cmp_ne_u32_e32 vcc_lo, 1, v0
	s_cbranch_vccnz .LBB11_229
; %bb.224:
	v_mov_b32_e32 v36, 0
	v_mov_b32_e32 v34, 0
	s_cmp_lg_u32 s33, 0
	s_mov_b32 s4, 0
	s_cbranch_scc0 .LBB11_233
; %bb.225:
	s_min_u32 s5, s36, 15
	v_mov_b32_e32 v36, 0
	s_add_i32 s5, s5, 1
	s_cmp_eq_u32 s36, 2
	s_mov_b32 s6, 0
	s_cbranch_scc1 .LBB11_230
; %bb.226:
	v_mov_b32_e32 v34, 0
	v_mov_b32_e32 v36, 0
	;; [unrolled: 1-line block ×3, first 2 shown]
	s_add_u32 s0, s14, 0xc4
	s_addc_u32 s1, s15, 0
	s_and_b32 s6, s5, 28
	s_mov_b32 s7, 0
	s_mov_b64 s[2:3], s[14:15]
.LBB11_227:                             ; =>This Inner Loop Header: Depth=1
	s_clause 0x1
	s_load_b256 s[20:27], s[2:3], 0x4
	s_load_b128 s[8:11], s[2:3], 0x24
	s_load_b256 s[36:43], s[0:1], 0x0
	s_add_u32 s2, s2, 48
	s_addc_u32 s3, s3, 0
	s_add_i32 s7, s7, 4
	s_add_u32 s0, s0, 32
	s_addc_u32 s1, s1, 0
	s_cmp_lg_u32 s6, s7
	s_waitcnt lgkmcnt(0)
	v_mul_hi_u32 v1, s21, v0
	s_delay_alu instid0(VALU_DEP_1) | instskip(NEXT) | instid1(VALU_DEP_1)
	v_add_nc_u32_e32 v1, v0, v1
	v_lshrrev_b32_e32 v1, s22, v1
	s_delay_alu instid0(VALU_DEP_1) | instskip(SKIP_1) | instid1(VALU_DEP_2)
	v_mul_hi_u32 v4, s24, v1
	v_mul_lo_u32 v6, v1, s20
	v_add_nc_u32_e32 v4, v1, v4
	s_delay_alu instid0(VALU_DEP_2) | instskip(NEXT) | instid1(VALU_DEP_2)
	v_sub_nc_u32_e32 v0, v0, v6
	v_lshrrev_b32_e32 v4, s25, v4
	s_delay_alu instid0(VALU_DEP_2) | instskip(SKIP_1) | instid1(VALU_DEP_3)
	v_mul_lo_u32 v6, v0, s36
	v_mul_lo_u32 v8, v0, s37
	v_mul_hi_u32 v5, s27, v4
	s_delay_alu instid0(VALU_DEP_1) | instskip(NEXT) | instid1(VALU_DEP_1)
	v_add_nc_u32_e32 v5, v4, v5
	v_lshrrev_b32_e32 v5, s8, v5
	s_delay_alu instid0(VALU_DEP_1) | instskip(SKIP_1) | instid1(VALU_DEP_2)
	v_mul_hi_u32 v7, s10, v5
	v_mul_lo_u32 v9, v5, s26
	v_add_nc_u32_e32 v0, v5, v7
	v_mul_lo_u32 v7, v4, s23
	s_delay_alu instid0(VALU_DEP_3) | instskip(NEXT) | instid1(VALU_DEP_3)
	v_sub_nc_u32_e32 v4, v4, v9
	v_lshrrev_b32_e32 v0, s11, v0
	s_delay_alu instid0(VALU_DEP_2) | instskip(SKIP_2) | instid1(VALU_DEP_4)
	v_mul_lo_u32 v9, v4, s40
	v_mul_lo_u32 v4, v4, s41
	v_sub_nc_u32_e32 v1, v1, v7
	v_mul_lo_u32 v10, v0, s9
	s_delay_alu instid0(VALU_DEP_2) | instskip(SKIP_1) | instid1(VALU_DEP_3)
	v_mul_lo_u32 v7, v1, s38
	v_mul_lo_u32 v1, v1, s39
	v_sub_nc_u32_e32 v5, v5, v10
	s_delay_alu instid0(VALU_DEP_3) | instskip(NEXT) | instid1(VALU_DEP_2)
	v_add3_u32 v6, v6, v36, v7
	v_mul_lo_u32 v10, v5, s42
	v_mul_lo_u32 v5, v5, s43
	v_add3_u32 v1, v8, v34, v1
	s_delay_alu instid0(VALU_DEP_3) | instskip(NEXT) | instid1(VALU_DEP_2)
	v_add3_u32 v36, v9, v6, v10
	v_add3_u32 v34, v4, v1, v5
	s_cbranch_scc1 .LBB11_227
; %bb.228:
	s_and_b32 s5, s5, 3
	s_delay_alu instid0(SALU_CYCLE_1)
	s_cmp_eq_u32 s5, 0
	s_cbranch_scc0 .LBB11_231
	s_branch .LBB11_233
.LBB11_229:
	s_mov_b32 s4, -1
                                        ; implicit-def: $vgpr36
                                        ; implicit-def: $vgpr34
	s_branch .LBB11_233
.LBB11_230:
	v_mov_b32_e32 v0, v3
	v_mov_b32_e32 v34, 0
	s_and_b32 s5, s5, 3
	s_delay_alu instid0(SALU_CYCLE_1)
	s_cmp_eq_u32 s5, 0
	s_cbranch_scc1 .LBB11_233
.LBB11_231:
	s_lshl_b32 s0, s6, 3
	s_mul_i32 s2, s6, 12
	s_add_u32 s0, s0, s14
	s_addc_u32 s1, 0, s15
	s_add_u32 s0, s0, 0xc4
	s_addc_u32 s1, s1, 0
	;; [unrolled: 2-line block ×3, first 2 shown]
	.p2align	6
.LBB11_232:                             ; =>This Inner Loop Header: Depth=1
	s_clause 0x1
	s_load_b64 s[6:7], s[2:3], 0x4
	s_load_b32 s10, s[2:3], 0xc
	s_load_b64 s[8:9], s[0:1], 0x0
	s_add_u32 s2, s2, 12
	s_addc_u32 s3, s3, 0
	s_add_u32 s0, s0, 8
	s_addc_u32 s1, s1, 0
	s_add_i32 s5, s5, -1
	s_delay_alu instid0(SALU_CYCLE_1) | instskip(SKIP_2) | instid1(VALU_DEP_1)
	s_cmp_lg_u32 s5, 0
	s_waitcnt lgkmcnt(0)
	v_mul_hi_u32 v1, s7, v0
	v_add_nc_u32_e32 v1, v0, v1
	s_delay_alu instid0(VALU_DEP_1) | instskip(NEXT) | instid1(VALU_DEP_1)
	v_lshrrev_b32_e32 v1, s10, v1
	v_mul_lo_u32 v4, v1, s6
	s_delay_alu instid0(VALU_DEP_1) | instskip(NEXT) | instid1(VALU_DEP_1)
	v_sub_nc_u32_e32 v0, v0, v4
	v_mad_u64_u32 v[4:5], null, v0, s8, v[36:37]
	v_mad_u64_u32 v[5:6], null, v0, s9, v[34:35]
	v_mov_b32_e32 v0, v1
	s_delay_alu instid0(VALU_DEP_3) | instskip(NEXT) | instid1(VALU_DEP_3)
	v_mov_b32_e32 v36, v4
	v_mov_b32_e32 v34, v5
	s_cbranch_scc1 .LBB11_232
.LBB11_233:
	s_and_not1_b32 vcc_lo, exec_lo, s4
	s_cbranch_vccnz .LBB11_236
; %bb.234:
	s_clause 0x1
	s_load_b128 s[0:3], s[14:15], 0x4
	s_load_b64 s[4:5], s[14:15], 0xc4
	s_cmp_lt_u32 s33, 2
	s_waitcnt lgkmcnt(0)
	v_mul_hi_u32 v0, s1, v3
	s_delay_alu instid0(VALU_DEP_1) | instskip(NEXT) | instid1(VALU_DEP_1)
	v_add_nc_u32_e32 v0, v3, v0
	v_lshrrev_b32_e32 v0, s2, v0
	s_delay_alu instid0(VALU_DEP_1) | instskip(NEXT) | instid1(VALU_DEP_1)
	v_mul_lo_u32 v1, v0, s0
	v_sub_nc_u32_e32 v1, v3, v1
	s_delay_alu instid0(VALU_DEP_1)
	v_mul_lo_u32 v36, v1, s4
	v_mul_lo_u32 v34, v1, s5
	s_cbranch_scc1 .LBB11_236
; %bb.235:
	s_clause 0x1
	s_load_b128 s[0:3], s[14:15], 0x10
	s_load_b64 s[4:5], s[14:15], 0xcc
	s_waitcnt lgkmcnt(0)
	v_mul_hi_u32 v1, s1, v0
	s_delay_alu instid0(VALU_DEP_1) | instskip(NEXT) | instid1(VALU_DEP_1)
	v_add_nc_u32_e32 v1, v0, v1
	v_lshrrev_b32_e32 v1, s2, v1
	s_delay_alu instid0(VALU_DEP_1) | instskip(NEXT) | instid1(VALU_DEP_1)
	v_mul_lo_u32 v1, v1, s0
	v_sub_nc_u32_e32 v5, v0, v1
	s_delay_alu instid0(VALU_DEP_1) | instskip(SKIP_1) | instid1(VALU_DEP_2)
	v_mad_u64_u32 v[0:1], null, v5, s4, v[36:37]
	v_mad_u64_u32 v[3:4], null, v5, s5, v[34:35]
	v_mov_b32_e32 v36, v0
	s_delay_alu instid0(VALU_DEP_2)
	v_mov_b32_e32 v34, v3
.LBB11_236:
	s_clause 0x1
	s_load_b32 s18, s[12:13], 0x160
	s_load_b128 s[12:15], s[14:15], 0x148
	s_getpc_b64 s[20:21]
	s_add_u32 s20, s20, _ZN2at6native6invokeIZZZNS0_12_GLOBAL__N_130modified_bessel_k0_kernel_cudaERNS_18TensorIteratorBaseEENKUlvE_clEvENKUlvE_clEvEUldE_j15function_traitsIS7_EEENT1_11result_typeERKT_PrKPcPKT0_PKN3c1010ScalarTypeEi@rel32@lo+4
	s_addc_u32 s21, s21, _ZN2at6native6invokeIZZZNS0_12_GLOBAL__N_130modified_bessel_k0_kernel_cudaERNS_18TensorIteratorBaseEENKUlvE_clEvENKUlvE_clEvEUldE_j15function_traitsIS7_EEENT1_11result_typeERKT_PrKPcPKT0_PKN3c1010ScalarTypeEi@rel32@hi+12
	s_waitcnt lgkmcnt(0)
	s_lshr_b32 s19, s18, 16
	v_dual_mov_b32 v0, s14 :: v_dual_mov_b32 v1, s15
	v_mov_b32_e32 v3, s19
	s_swappc_b64 s[30:31], s[20:21]
	s_delay_alu instid0(VALU_DEP_2) | instskip(SKIP_3) | instid1(VALU_DEP_2)
	v_dual_mov_b32 v32, v0 :: v_dual_mov_b32 v33, v1
	v_dual_mov_b32 v0, s14 :: v_dual_mov_b32 v1, s15
	;; [unrolled: 1-line block ×3, first 2 shown]
	s_swappc_b64 s[30:31], s[20:21]
	v_dual_mov_b32 v30, v0 :: v_dual_mov_b32 v31, v1
	v_dual_mov_b32 v0, s14 :: v_dual_mov_b32 v1, s15
	;; [unrolled: 1-line block ×3, first 2 shown]
	s_swappc_b64 s[30:31], s[20:21]
	s_delay_alu instid0(VALU_DEP_2)
	v_dual_mov_b32 v28, v0 :: v_dual_mov_b32 v29, v1
	v_dual_mov_b32 v0, s14 :: v_dual_mov_b32 v1, s15
	;; [unrolled: 1-line block ×3, first 2 shown]
	s_swappc_b64 s[30:31], s[20:21]
	s_lshr_b32 s0, s18, 8
	s_mov_b32 s3, 0
	v_and_b32_e64 v6, 0xff, s0
	v_add_co_u32 v2, s0, s12, v35
	s_delay_alu instid0(VALU_DEP_1) | instskip(NEXT) | instid1(VALU_DEP_3)
	v_add_co_ci_u32_e64 v3, null, s13, 0, s0
	v_cmp_gt_i16_e32 vcc_lo, 11, v6
	s_mov_b32 s0, -1
	s_mov_b32 s1, s16
	s_cbranch_vccnz .LBB11_314
; %bb.237:
	v_cmp_lt_i16_e32 vcc_lo, 25, v6
	s_mov_b32 s1, -1
	s_mov_b32 s2, 0
	s_mov_b32 s0, 0
	s_cbranch_vccz .LBB11_270
; %bb.238:
	v_cmp_lt_i16_e32 vcc_lo, 28, v6
	s_cbranch_vccz .LBB11_253
; %bb.239:
	v_cmp_lt_i16_e32 vcc_lo, 43, v6
	;; [unrolled: 3-line block ×3, first 2 shown]
	s_cbranch_vccz .LBB11_243
; %bb.241:
	v_cmp_eq_u16_e32 vcc_lo, 46, v6
	s_mov_b32 s0, -1
	s_mov_b32 s1, 0
	s_cbranch_vccz .LBB11_243
; %bb.242:
	v_cvt_f32_f64_e32 v4, v[32:33]
	s_mov_b32 s0, 0
	s_mov_b32 s3, -1
	s_delay_alu instid0(VALU_DEP_1) | instskip(SKIP_1) | instid1(VALU_DEP_2)
	v_bfe_u32 v5, v4, 16, 1
	v_cmp_o_f32_e32 vcc_lo, v4, v4
	v_add3_u32 v5, v4, v5, 0x7fff
	s_delay_alu instid0(VALU_DEP_1) | instskip(NEXT) | instid1(VALU_DEP_1)
	v_lshrrev_b32_e32 v5, 16, v5
	v_cndmask_b32_e32 v4, 0x7fc0, v5, vcc_lo
	global_store_b32 v[2:3], v4, off
.LBB11_243:
	s_and_b32 vcc_lo, exec_lo, s1
	s_cbranch_vccz .LBB11_248
; %bb.244:
	v_cmp_eq_u16_e32 vcc_lo, 44, v6
	s_mov_b32 s0, -1
	s_cbranch_vccz .LBB11_248
; %bb.245:
	v_cvt_f32_f64_e32 v4, v[32:33]
	v_mov_b32_e32 v5, 0xff
	s_mov_b32 s1, exec_lo
	s_delay_alu instid0(VALU_DEP_2) | instskip(NEXT) | instid1(VALU_DEP_1)
	v_bfe_u32 v7, v4, 23, 8
	v_cmpx_ne_u32_e32 0xff, v7
; %bb.246:
	v_and_b32_e32 v5, 0x400000, v4
	v_and_or_b32 v7, 0x3fffff, v4, v7
	v_lshrrev_b32_e32 v4, 23, v4
	s_delay_alu instid0(VALU_DEP_3) | instskip(NEXT) | instid1(VALU_DEP_3)
	v_cmp_ne_u32_e32 vcc_lo, 0, v5
	v_cmp_ne_u32_e64 s0, 0, v7
	s_delay_alu instid0(VALU_DEP_1) | instskip(NEXT) | instid1(SALU_CYCLE_1)
	s_and_b32 s0, vcc_lo, s0
	v_cndmask_b32_e64 v5, 0, 1, s0
	s_delay_alu instid0(VALU_DEP_1)
	v_add_nc_u32_e32 v5, v4, v5
; %bb.247:
	s_or_b32 exec_lo, exec_lo, s1
	s_mov_b32 s0, 0
	s_mov_b32 s3, -1
	global_store_b8 v[2:3], v5, off
.LBB11_248:
	s_mov_b32 s1, 0
.LBB11_249:
	s_delay_alu instid0(SALU_CYCLE_1)
	s_and_b32 vcc_lo, exec_lo, s1
	s_cbranch_vccz .LBB11_252
; %bb.250:
	v_cmp_eq_u16_e32 vcc_lo, 29, v6
	s_mov_b32 s0, -1
	s_cbranch_vccz .LBB11_252
; %bb.251:
	v_trunc_f64_e32 v[4:5], v[32:33]
	s_mov_b32 s0, 0
	s_mov_b32 s3, -1
	s_delay_alu instid0(VALU_DEP_1) | instskip(NEXT) | instid1(VALU_DEP_1)
	v_ldexp_f64 v[7:8], v[4:5], 0xffffffe0
	v_floor_f64_e32 v[7:8], v[7:8]
	s_delay_alu instid0(VALU_DEP_1) | instskip(SKIP_1) | instid1(VALU_DEP_2)
	v_fma_f64 v[4:5], 0xc1f00000, v[7:8], v[4:5]
	v_cvt_u32_f64_e32 v8, v[7:8]
	v_cvt_u32_f64_e32 v7, v[4:5]
	global_store_b64 v[2:3], v[7:8], off
.LBB11_252:
	s_mov_b32 s1, 0
.LBB11_253:
	s_delay_alu instid0(SALU_CYCLE_1)
	s_and_b32 vcc_lo, exec_lo, s1
	s_cbranch_vccz .LBB11_269
; %bb.254:
	v_cmp_gt_i16_e32 vcc_lo, 27, v6
	s_mov_b32 s1, -1
	s_cbranch_vccnz .LBB11_260
; %bb.255:
	v_cmp_lt_i16_e32 vcc_lo, 27, v6
	s_cbranch_vccz .LBB11_257
; %bb.256:
	v_cvt_u32_f64_e32 v4, v[32:33]
	s_mov_b32 s1, 0
	global_store_b32 v[2:3], v4, off
.LBB11_257:
	s_and_not1_b32 vcc_lo, exec_lo, s1
	s_cbranch_vccnz .LBB11_259
; %bb.258:
	v_cvt_u32_f64_e32 v4, v[32:33]
	global_store_b16 v[2:3], v4, off
.LBB11_259:
	s_mov_b32 s1, 0
.LBB11_260:
	s_delay_alu instid0(SALU_CYCLE_1)
	s_and_not1_b32 vcc_lo, exec_lo, s1
	s_cbranch_vccnz .LBB11_268
; %bb.261:
	v_cvt_f32_f64_e32 v4, v[32:33]
	v_mov_b32_e32 v7, 0x80
	s_mov_b32 s1, exec_lo
	s_delay_alu instid0(VALU_DEP_2) | instskip(NEXT) | instid1(VALU_DEP_1)
	v_and_b32_e32 v5, 0x7fffffff, v4
	v_cmpx_gt_u32_e32 0x43800000, v5
	s_cbranch_execz .LBB11_267
; %bb.262:
	v_cmp_lt_u32_e32 vcc_lo, 0x3bffffff, v5
	s_mov_b32 s3, 0
                                        ; implicit-def: $vgpr5
	s_and_saveexec_b32 s4, vcc_lo
	s_delay_alu instid0(SALU_CYCLE_1)
	s_xor_b32 s4, exec_lo, s4
	s_cbranch_execz .LBB11_768
; %bb.263:
	v_bfe_u32 v5, v4, 20, 1
	s_mov_b32 s3, exec_lo
	s_delay_alu instid0(VALU_DEP_1) | instskip(NEXT) | instid1(VALU_DEP_1)
	v_add3_u32 v5, v4, v5, 0x487ffff
	v_lshrrev_b32_e32 v5, 20, v5
	s_or_saveexec_b32 s4, s4
                                        ; implicit-def: $sgpr5
	s_delay_alu instid0(SALU_CYCLE_1)
	s_xor_b32 exec_lo, exec_lo, s4
	s_cbranch_execnz .LBB11_769
.LBB11_264:
	s_or_b32 exec_lo, exec_lo, s4
	v_mov_b32_e32 v7, s5
	s_and_saveexec_b32 s4, s3
.LBB11_265:
	v_lshrrev_b32_e32 v4, 24, v4
	s_delay_alu instid0(VALU_DEP_1)
	v_and_or_b32 v7, 0x80, v4, v5
.LBB11_266:
	s_or_b32 exec_lo, exec_lo, s4
.LBB11_267:
	s_delay_alu instid0(SALU_CYCLE_1)
	s_or_b32 exec_lo, exec_lo, s1
	global_store_b8 v[2:3], v7, off
.LBB11_268:
	s_mov_b32 s3, -1
.LBB11_269:
	s_mov_b32 s1, 0
.LBB11_270:
	s_delay_alu instid0(SALU_CYCLE_1)
	s_and_b32 vcc_lo, exec_lo, s1
	s_cbranch_vccz .LBB11_310
; %bb.271:
	v_cmp_lt_i16_e32 vcc_lo, 22, v6
	s_mov_b32 s1, -1
	s_cbranch_vccz .LBB11_303
; %bb.272:
	v_cmp_gt_i16_e32 vcc_lo, 24, v6
	s_cbranch_vccnz .LBB11_292
; %bb.273:
	v_cmp_lt_i16_e32 vcc_lo, 24, v6
	s_cbranch_vccz .LBB11_281
; %bb.274:
	v_cvt_f32_f64_e32 v4, v[32:33]
	v_mov_b32_e32 v7, 0x80
	s_mov_b32 s1, exec_lo
	s_delay_alu instid0(VALU_DEP_2) | instskip(NEXT) | instid1(VALU_DEP_1)
	v_and_b32_e32 v5, 0x7fffffff, v4
	v_cmpx_gt_u32_e32 0x47800000, v5
	s_cbranch_execz .LBB11_280
; %bb.275:
	v_cmp_lt_u32_e32 vcc_lo, 0x37ffffff, v5
                                        ; implicit-def: $vgpr5
	s_and_saveexec_b32 s3, vcc_lo
	s_delay_alu instid0(SALU_CYCLE_1)
	s_xor_b32 s3, exec_lo, s3
	s_cbranch_execz .LBB11_775
; %bb.276:
	v_bfe_u32 v5, v4, 21, 1
	s_mov_b32 s2, exec_lo
	s_delay_alu instid0(VALU_DEP_1) | instskip(NEXT) | instid1(VALU_DEP_1)
	v_add3_u32 v5, v4, v5, 0x88fffff
	v_lshrrev_b32_e32 v5, 21, v5
	s_or_saveexec_b32 s3, s3
                                        ; implicit-def: $sgpr4
	s_delay_alu instid0(SALU_CYCLE_1)
	s_xor_b32 exec_lo, exec_lo, s3
	s_cbranch_execnz .LBB11_776
.LBB11_277:
	s_or_b32 exec_lo, exec_lo, s3
	v_mov_b32_e32 v7, s4
	s_and_saveexec_b32 s3, s2
.LBB11_278:
	v_lshrrev_b32_e32 v4, 24, v4
	s_delay_alu instid0(VALU_DEP_1)
	v_and_or_b32 v7, 0x80, v4, v5
.LBB11_279:
	s_or_b32 exec_lo, exec_lo, s3
.LBB11_280:
	s_delay_alu instid0(SALU_CYCLE_1)
	s_or_b32 exec_lo, exec_lo, s1
	s_mov_b32 s1, 0
	global_store_b8 v[2:3], v7, off
.LBB11_281:
	s_and_b32 vcc_lo, exec_lo, s1
	s_cbranch_vccz .LBB11_291
; %bb.282:
	v_cvt_f32_f64_e32 v4, v[32:33]
	s_mov_b32 s1, exec_lo
                                        ; implicit-def: $vgpr5
	s_delay_alu instid0(VALU_DEP_1) | instskip(NEXT) | instid1(VALU_DEP_1)
	v_and_b32_e32 v7, 0x7fffffff, v4
	v_cmpx_gt_u32_e32 0x43f00000, v7
	s_xor_b32 s1, exec_lo, s1
	s_cbranch_execz .LBB11_288
; %bb.283:
	s_mov_b32 s2, exec_lo
                                        ; implicit-def: $vgpr5
	v_cmpx_lt_u32_e32 0x3c7fffff, v7
	s_xor_b32 s2, exec_lo, s2
; %bb.284:
	v_bfe_u32 v5, v4, 20, 1
	s_delay_alu instid0(VALU_DEP_1) | instskip(NEXT) | instid1(VALU_DEP_1)
	v_add3_u32 v5, v4, v5, 0x407ffff
	v_and_b32_e32 v7, 0xff00000, v5
	v_lshrrev_b32_e32 v5, 20, v5
	s_delay_alu instid0(VALU_DEP_2) | instskip(NEXT) | instid1(VALU_DEP_2)
	v_cmp_ne_u32_e32 vcc_lo, 0x7f00000, v7
	v_cndmask_b32_e32 v5, 0x7e, v5, vcc_lo
; %bb.285:
	s_and_not1_saveexec_b32 s2, s2
; %bb.286:
	v_add_f32_e64 v5, 0x46800000, |v4|
; %bb.287:
	s_or_b32 exec_lo, exec_lo, s2
                                        ; implicit-def: $vgpr7
.LBB11_288:
	s_and_not1_saveexec_b32 s1, s1
; %bb.289:
	v_mov_b32_e32 v5, 0x7f
	v_cmp_lt_u32_e32 vcc_lo, 0x7f800000, v7
	s_delay_alu instid0(VALU_DEP_2)
	v_cndmask_b32_e32 v5, 0x7e, v5, vcc_lo
; %bb.290:
	s_or_b32 exec_lo, exec_lo, s1
	v_lshrrev_b32_e32 v4, 24, v4
	s_delay_alu instid0(VALU_DEP_1)
	v_and_or_b32 v4, 0x80, v4, v5
	global_store_b8 v[2:3], v4, off
.LBB11_291:
	s_mov_b32 s1, 0
.LBB11_292:
	s_delay_alu instid0(SALU_CYCLE_1)
	s_and_not1_b32 vcc_lo, exec_lo, s1
	s_cbranch_vccnz .LBB11_302
; %bb.293:
	v_cvt_f32_f64_e32 v4, v[32:33]
	s_mov_b32 s1, exec_lo
                                        ; implicit-def: $vgpr5
	s_delay_alu instid0(VALU_DEP_1) | instskip(NEXT) | instid1(VALU_DEP_1)
	v_and_b32_e32 v7, 0x7fffffff, v4
	v_cmpx_gt_u32_e32 0x47800000, v7
	s_xor_b32 s1, exec_lo, s1
	s_cbranch_execz .LBB11_299
; %bb.294:
	s_mov_b32 s2, exec_lo
                                        ; implicit-def: $vgpr5
	v_cmpx_lt_u32_e32 0x387fffff, v7
	s_xor_b32 s2, exec_lo, s2
; %bb.295:
	v_bfe_u32 v5, v4, 21, 1
	s_delay_alu instid0(VALU_DEP_1) | instskip(NEXT) | instid1(VALU_DEP_1)
	v_add3_u32 v5, v4, v5, 0x80fffff
	v_lshrrev_b32_e32 v5, 21, v5
; %bb.296:
	s_and_not1_saveexec_b32 s2, s2
; %bb.297:
	v_add_f32_e64 v5, 0x43000000, |v4|
; %bb.298:
	s_or_b32 exec_lo, exec_lo, s2
                                        ; implicit-def: $vgpr7
.LBB11_299:
	s_and_not1_saveexec_b32 s1, s1
; %bb.300:
	v_mov_b32_e32 v5, 0x7f
	v_cmp_lt_u32_e32 vcc_lo, 0x7f800000, v7
	s_delay_alu instid0(VALU_DEP_2)
	v_cndmask_b32_e32 v5, 0x7c, v5, vcc_lo
; %bb.301:
	s_or_b32 exec_lo, exec_lo, s1
	v_lshrrev_b32_e32 v4, 24, v4
	s_delay_alu instid0(VALU_DEP_1)
	v_and_or_b32 v4, 0x80, v4, v5
	global_store_b8 v[2:3], v4, off
.LBB11_302:
	s_mov_b32 s1, 0
	s_mov_b32 s3, -1
.LBB11_303:
	s_and_not1_b32 vcc_lo, exec_lo, s1
	s_mov_b32 s2, 0
	s_cbranch_vccnz .LBB11_310
; %bb.304:
	v_cmp_lt_i16_e32 vcc_lo, 14, v6
	s_mov_b32 s1, -1
	s_cbranch_vccz .LBB11_308
; %bb.305:
	v_cmp_eq_u16_e32 vcc_lo, 15, v6
	s_mov_b32 s0, -1
	s_cbranch_vccz .LBB11_307
; %bb.306:
	v_cvt_f32_f64_e32 v4, v[32:33]
	s_mov_b32 s0, 0
	s_mov_b32 s3, -1
	s_delay_alu instid0(VALU_DEP_1) | instskip(SKIP_1) | instid1(VALU_DEP_2)
	v_bfe_u32 v5, v4, 16, 1
	v_cmp_o_f32_e32 vcc_lo, v4, v4
	v_add3_u32 v5, v4, v5, 0x7fff
	s_delay_alu instid0(VALU_DEP_1) | instskip(NEXT) | instid1(VALU_DEP_1)
	v_lshrrev_b32_e32 v5, 16, v5
	v_cndmask_b32_e32 v4, 0x7fc0, v5, vcc_lo
	global_store_b16 v[2:3], v4, off
.LBB11_307:
	s_mov_b32 s1, 0
.LBB11_308:
	s_delay_alu instid0(SALU_CYCLE_1)
	s_and_b32 vcc_lo, exec_lo, s1
	s_cbranch_vccz .LBB11_310
; %bb.309:
	v_cmp_ne_u16_e64 s0, 11, v6
	s_mov_b32 s2, -1
.LBB11_310:
	s_delay_alu instid0(VALU_DEP_1)
	s_and_b32 vcc_lo, exec_lo, s0
	s_mov_b32 s1, s16
	s_cbranch_vccnz .LBB11_770
; %bb.311:
	s_and_not1_b32 vcc_lo, exec_lo, s2
	s_cbranch_vccnz .LBB11_313
.LBB11_312:
	v_cmp_neq_f64_e32 vcc_lo, 0, v[32:33]
	s_mov_b32 s3, -1
	v_cndmask_b32_e64 v4, 0, 1, vcc_lo
	global_store_b8 v[2:3], v4, off
.LBB11_313:
	s_mov_b32 s0, 0
.LBB11_314:
	s_delay_alu instid0(SALU_CYCLE_1)
	s_and_b32 vcc_lo, exec_lo, s0
	s_cbranch_vccz .LBB11_353
; %bb.315:
	v_cmp_gt_i16_e32 vcc_lo, 5, v6
	s_mov_b32 s0, -1
	s_cbranch_vccnz .LBB11_336
; %bb.316:
	v_cmp_gt_i16_e32 vcc_lo, 8, v6
	s_cbranch_vccnz .LBB11_326
; %bb.317:
	v_cmp_gt_i16_e32 vcc_lo, 9, v6
	s_cbranch_vccnz .LBB11_323
; %bb.318:
	v_cmp_lt_i16_e32 vcc_lo, 9, v6
	s_cbranch_vccz .LBB11_320
; %bb.319:
	v_mov_b32_e32 v34, 0
	s_mov_b32 s0, 0
	s_delay_alu instid0(VALU_DEP_1)
	v_mov_b32_e32 v35, v34
	global_store_b128 v[2:3], v[32:35], off
.LBB11_320:
	s_and_not1_b32 vcc_lo, exec_lo, s0
	s_cbranch_vccnz .LBB11_322
; %bb.321:
	v_cvt_f32_f64_e32 v4, v[32:33]
	v_mov_b32_e32 v5, 0
	global_store_b64 v[2:3], v[4:5], off
.LBB11_322:
	s_mov_b32 s0, 0
.LBB11_323:
	s_delay_alu instid0(SALU_CYCLE_1)
	s_and_not1_b32 vcc_lo, exec_lo, s0
	s_cbranch_vccnz .LBB11_325
; %bb.324:
	v_cvt_f32_f64_e32 v4, v[32:33]
	s_delay_alu instid0(VALU_DEP_1) | instskip(NEXT) | instid1(VALU_DEP_1)
	v_cvt_f16_f32_e32 v4, v4
	v_and_b32_e32 v4, 0xffff, v4
	global_store_b32 v[2:3], v4, off
.LBB11_325:
	s_mov_b32 s0, 0
.LBB11_326:
	s_delay_alu instid0(SALU_CYCLE_1)
	s_and_not1_b32 vcc_lo, exec_lo, s0
	s_cbranch_vccnz .LBB11_335
; %bb.327:
	v_cmp_gt_i16_e32 vcc_lo, 6, v6
	s_mov_b32 s0, -1
	s_cbranch_vccnz .LBB11_333
; %bb.328:
	v_cmp_lt_i16_e32 vcc_lo, 6, v6
	s_cbranch_vccz .LBB11_330
; %bb.329:
	s_mov_b32 s0, 0
	global_store_b64 v[2:3], v[32:33], off
.LBB11_330:
	s_and_not1_b32 vcc_lo, exec_lo, s0
	s_cbranch_vccnz .LBB11_332
; %bb.331:
	v_cvt_f32_f64_e32 v4, v[32:33]
	global_store_b32 v[2:3], v4, off
.LBB11_332:
	s_mov_b32 s0, 0
.LBB11_333:
	s_delay_alu instid0(SALU_CYCLE_1)
	s_and_not1_b32 vcc_lo, exec_lo, s0
	s_cbranch_vccnz .LBB11_335
; %bb.334:
	v_cvt_f32_f64_e32 v4, v[32:33]
	s_delay_alu instid0(VALU_DEP_1)
	v_cvt_f16_f32_e32 v4, v4
	global_store_b16 v[2:3], v4, off
.LBB11_335:
	s_mov_b32 s0, 0
.LBB11_336:
	s_delay_alu instid0(SALU_CYCLE_1)
	s_and_not1_b32 vcc_lo, exec_lo, s0
	s_cbranch_vccnz .LBB11_352
; %bb.337:
	v_cmp_gt_i16_e32 vcc_lo, 2, v6
	s_mov_b32 s0, -1
	s_cbranch_vccnz .LBB11_347
; %bb.338:
	v_cmp_gt_i16_e32 vcc_lo, 3, v6
	s_cbranch_vccnz .LBB11_344
; %bb.339:
	v_cmp_lt_i16_e32 vcc_lo, 3, v6
	s_cbranch_vccz .LBB11_341
; %bb.340:
	v_trunc_f64_e32 v[4:5], v[32:33]
	s_mov_b32 s0, 0
	s_delay_alu instid0(VALU_DEP_1) | instskip(NEXT) | instid1(VALU_DEP_1)
	v_ldexp_f64 v[7:8], v[4:5], 0xffffffe0
	v_floor_f64_e32 v[7:8], v[7:8]
	s_delay_alu instid0(VALU_DEP_1) | instskip(SKIP_1) | instid1(VALU_DEP_2)
	v_fma_f64 v[4:5], 0xc1f00000, v[7:8], v[4:5]
	v_cvt_i32_f64_e32 v8, v[7:8]
	v_cvt_u32_f64_e32 v7, v[4:5]
	global_store_b64 v[2:3], v[7:8], off
.LBB11_341:
	s_and_not1_b32 vcc_lo, exec_lo, s0
	s_cbranch_vccnz .LBB11_343
; %bb.342:
	v_cvt_i32_f64_e32 v4, v[32:33]
	global_store_b32 v[2:3], v4, off
.LBB11_343:
	s_mov_b32 s0, 0
.LBB11_344:
	s_delay_alu instid0(SALU_CYCLE_1)
	s_and_not1_b32 vcc_lo, exec_lo, s0
	s_cbranch_vccnz .LBB11_346
; %bb.345:
	v_cvt_i32_f64_e32 v4, v[32:33]
	global_store_b16 v[2:3], v4, off
.LBB11_346:
	s_mov_b32 s0, 0
.LBB11_347:
	s_delay_alu instid0(SALU_CYCLE_1)
	s_and_not1_b32 vcc_lo, exec_lo, s0
	s_cbranch_vccnz .LBB11_352
; %bb.348:
	v_cmp_lt_i16_e32 vcc_lo, 0, v6
	s_mov_b32 s0, -1
	s_cbranch_vccz .LBB11_350
; %bb.349:
	v_cvt_i32_f64_e32 v4, v[32:33]
	s_mov_b32 s0, 0
	global_store_b8 v[2:3], v4, off
.LBB11_350:
	s_and_not1_b32 vcc_lo, exec_lo, s0
	s_cbranch_vccnz .LBB11_352
; %bb.351:
	v_trunc_f64_e32 v[4:5], v[32:33]
	s_delay_alu instid0(VALU_DEP_1) | instskip(NEXT) | instid1(VALU_DEP_1)
	v_ldexp_f64 v[7:8], v[4:5], 0xffffffe0
	v_floor_f64_e32 v[7:8], v[7:8]
	s_delay_alu instid0(VALU_DEP_1) | instskip(NEXT) | instid1(VALU_DEP_1)
	v_fma_f64 v[4:5], 0xc1f00000, v[7:8], v[4:5]
	v_cvt_u32_f64_e32 v4, v[4:5]
	global_store_b8 v[2:3], v4, off
.LBB11_352:
	s_mov_b32 s3, -1
.LBB11_353:
	s_delay_alu instid0(SALU_CYCLE_1)
	s_and_not1_b32 vcc_lo, exec_lo, s3
	s_cbranch_vccnz .LBB11_666
; %bb.354:
	v_cmp_gt_i16_e32 vcc_lo, 11, v6
	v_add_co_u32 v2, s0, s12, v38
	s_delay_alu instid0(VALU_DEP_1)
	v_add_co_ci_u32_e64 v3, null, s13, 0, s0
	s_mov_b32 s3, 0
	s_mov_b32 s0, -1
	s_cbranch_vccnz .LBB11_432
; %bb.355:
	v_cmp_lt_i16_e32 vcc_lo, 25, v6
	s_mov_b32 s4, -1
	s_mov_b32 s2, 0
	s_mov_b32 s0, 0
	s_cbranch_vccz .LBB11_388
; %bb.356:
	v_cmp_lt_i16_e32 vcc_lo, 28, v6
	s_cbranch_vccz .LBB11_371
; %bb.357:
	v_cmp_lt_i16_e32 vcc_lo, 43, v6
	;; [unrolled: 3-line block ×3, first 2 shown]
	s_cbranch_vccz .LBB11_361
; %bb.359:
	v_cmp_eq_u16_e32 vcc_lo, 46, v6
	s_mov_b32 s0, -1
	s_mov_b32 s4, 0
	s_cbranch_vccz .LBB11_361
; %bb.360:
	v_cvt_f32_f64_e32 v4, v[30:31]
	s_mov_b32 s0, 0
	s_mov_b32 s3, -1
	s_delay_alu instid0(VALU_DEP_1) | instskip(SKIP_1) | instid1(VALU_DEP_2)
	v_bfe_u32 v5, v4, 16, 1
	v_cmp_o_f32_e32 vcc_lo, v4, v4
	v_add3_u32 v5, v4, v5, 0x7fff
	s_delay_alu instid0(VALU_DEP_1) | instskip(NEXT) | instid1(VALU_DEP_1)
	v_lshrrev_b32_e32 v5, 16, v5
	v_cndmask_b32_e32 v4, 0x7fc0, v5, vcc_lo
	global_store_b32 v[2:3], v4, off
.LBB11_361:
	s_and_b32 vcc_lo, exec_lo, s4
	s_cbranch_vccz .LBB11_366
; %bb.362:
	v_cmp_eq_u16_e32 vcc_lo, 44, v6
	s_mov_b32 s0, -1
	s_cbranch_vccz .LBB11_366
; %bb.363:
	v_cvt_f32_f64_e32 v4, v[30:31]
	v_mov_b32_e32 v5, 0xff
	s_mov_b32 s3, exec_lo
	s_delay_alu instid0(VALU_DEP_2) | instskip(NEXT) | instid1(VALU_DEP_1)
	v_bfe_u32 v7, v4, 23, 8
	v_cmpx_ne_u32_e32 0xff, v7
; %bb.364:
	v_and_b32_e32 v5, 0x400000, v4
	v_and_or_b32 v7, 0x3fffff, v4, v7
	v_lshrrev_b32_e32 v4, 23, v4
	s_delay_alu instid0(VALU_DEP_3) | instskip(NEXT) | instid1(VALU_DEP_3)
	v_cmp_ne_u32_e32 vcc_lo, 0, v5
	v_cmp_ne_u32_e64 s0, 0, v7
	s_delay_alu instid0(VALU_DEP_1) | instskip(NEXT) | instid1(SALU_CYCLE_1)
	s_and_b32 s0, vcc_lo, s0
	v_cndmask_b32_e64 v5, 0, 1, s0
	s_delay_alu instid0(VALU_DEP_1)
	v_add_nc_u32_e32 v5, v4, v5
; %bb.365:
	s_or_b32 exec_lo, exec_lo, s3
	s_mov_b32 s0, 0
	s_mov_b32 s3, -1
	global_store_b8 v[2:3], v5, off
.LBB11_366:
	s_mov_b32 s4, 0
.LBB11_367:
	s_delay_alu instid0(SALU_CYCLE_1)
	s_and_b32 vcc_lo, exec_lo, s4
	s_cbranch_vccz .LBB11_370
; %bb.368:
	v_cmp_eq_u16_e32 vcc_lo, 29, v6
	s_mov_b32 s0, -1
	s_cbranch_vccz .LBB11_370
; %bb.369:
	v_trunc_f64_e32 v[4:5], v[30:31]
	s_mov_b32 s0, 0
	s_mov_b32 s3, -1
	s_delay_alu instid0(VALU_DEP_1) | instskip(NEXT) | instid1(VALU_DEP_1)
	v_ldexp_f64 v[7:8], v[4:5], 0xffffffe0
	v_floor_f64_e32 v[7:8], v[7:8]
	s_delay_alu instid0(VALU_DEP_1) | instskip(SKIP_1) | instid1(VALU_DEP_2)
	v_fma_f64 v[4:5], 0xc1f00000, v[7:8], v[4:5]
	v_cvt_u32_f64_e32 v8, v[7:8]
	v_cvt_u32_f64_e32 v7, v[4:5]
	global_store_b64 v[2:3], v[7:8], off
.LBB11_370:
	s_mov_b32 s4, 0
.LBB11_371:
	s_delay_alu instid0(SALU_CYCLE_1)
	s_and_b32 vcc_lo, exec_lo, s4
	s_cbranch_vccz .LBB11_387
; %bb.372:
	v_cmp_gt_i16_e32 vcc_lo, 27, v6
	s_mov_b32 s3, -1
	s_cbranch_vccnz .LBB11_378
; %bb.373:
	v_cvt_u32_f64_e32 v4, v[30:31]
	v_cmp_lt_i16_e32 vcc_lo, 27, v6
	s_cbranch_vccz .LBB11_375
; %bb.374:
	s_mov_b32 s3, 0
	global_store_b32 v[2:3], v4, off
.LBB11_375:
	s_and_not1_b32 vcc_lo, exec_lo, s3
	s_cbranch_vccnz .LBB11_377
; %bb.376:
	global_store_b16 v[2:3], v4, off
.LBB11_377:
	s_mov_b32 s3, 0
.LBB11_378:
	s_delay_alu instid0(SALU_CYCLE_1)
	s_and_not1_b32 vcc_lo, exec_lo, s3
	s_cbranch_vccnz .LBB11_386
; %bb.379:
	v_cvt_f32_f64_e32 v4, v[30:31]
	v_mov_b32_e32 v7, 0x80
	s_mov_b32 s3, exec_lo
	s_delay_alu instid0(VALU_DEP_2) | instskip(NEXT) | instid1(VALU_DEP_1)
	v_and_b32_e32 v5, 0x7fffffff, v4
	v_cmpx_gt_u32_e32 0x43800000, v5
	s_cbranch_execz .LBB11_385
; %bb.380:
	v_cmp_lt_u32_e32 vcc_lo, 0x3bffffff, v5
	s_mov_b32 s4, 0
                                        ; implicit-def: $vgpr5
	s_and_saveexec_b32 s5, vcc_lo
	s_delay_alu instid0(SALU_CYCLE_1)
	s_xor_b32 s5, exec_lo, s5
	s_cbranch_execz .LBB11_777
; %bb.381:
	v_bfe_u32 v5, v4, 20, 1
	s_mov_b32 s4, exec_lo
	s_delay_alu instid0(VALU_DEP_1) | instskip(NEXT) | instid1(VALU_DEP_1)
	v_add3_u32 v5, v4, v5, 0x487ffff
	v_lshrrev_b32_e32 v5, 20, v5
	s_or_saveexec_b32 s5, s5
                                        ; implicit-def: $sgpr6
	s_delay_alu instid0(SALU_CYCLE_1)
	s_xor_b32 exec_lo, exec_lo, s5
	s_cbranch_execnz .LBB11_778
.LBB11_382:
	s_or_b32 exec_lo, exec_lo, s5
	v_mov_b32_e32 v7, s6
	s_and_saveexec_b32 s5, s4
.LBB11_383:
	v_lshrrev_b32_e32 v4, 24, v4
	s_delay_alu instid0(VALU_DEP_1)
	v_and_or_b32 v7, 0x80, v4, v5
.LBB11_384:
	s_or_b32 exec_lo, exec_lo, s5
.LBB11_385:
	s_delay_alu instid0(SALU_CYCLE_1)
	s_or_b32 exec_lo, exec_lo, s3
	global_store_b8 v[2:3], v7, off
.LBB11_386:
	s_mov_b32 s3, -1
.LBB11_387:
	s_mov_b32 s4, 0
.LBB11_388:
	s_delay_alu instid0(SALU_CYCLE_1)
	s_and_b32 vcc_lo, exec_lo, s4
	s_cbranch_vccz .LBB11_428
; %bb.389:
	v_cmp_lt_i16_e32 vcc_lo, 22, v6
	s_mov_b32 s2, -1
	s_cbranch_vccz .LBB11_421
; %bb.390:
	v_cmp_gt_i16_e32 vcc_lo, 24, v6
	s_cbranch_vccnz .LBB11_410
; %bb.391:
	v_cmp_lt_i16_e32 vcc_lo, 24, v6
	s_cbranch_vccz .LBB11_399
; %bb.392:
	v_cvt_f32_f64_e32 v4, v[30:31]
	v_mov_b32_e32 v7, 0x80
	s_mov_b32 s2, exec_lo
	s_delay_alu instid0(VALU_DEP_2) | instskip(NEXT) | instid1(VALU_DEP_1)
	v_and_b32_e32 v5, 0x7fffffff, v4
	v_cmpx_gt_u32_e32 0x47800000, v5
	s_cbranch_execz .LBB11_398
; %bb.393:
	v_cmp_lt_u32_e32 vcc_lo, 0x37ffffff, v5
	s_mov_b32 s3, 0
                                        ; implicit-def: $vgpr5
	s_and_saveexec_b32 s4, vcc_lo
	s_delay_alu instid0(SALU_CYCLE_1)
	s_xor_b32 s4, exec_lo, s4
	s_cbranch_execz .LBB11_925
; %bb.394:
	v_bfe_u32 v5, v4, 21, 1
	s_mov_b32 s3, exec_lo
	s_delay_alu instid0(VALU_DEP_1) | instskip(NEXT) | instid1(VALU_DEP_1)
	v_add3_u32 v5, v4, v5, 0x88fffff
	v_lshrrev_b32_e32 v5, 21, v5
	s_or_saveexec_b32 s4, s4
                                        ; implicit-def: $sgpr5
	s_delay_alu instid0(SALU_CYCLE_1)
	s_xor_b32 exec_lo, exec_lo, s4
	s_cbranch_execnz .LBB11_926
.LBB11_395:
	s_or_b32 exec_lo, exec_lo, s4
	v_mov_b32_e32 v7, s5
	s_and_saveexec_b32 s4, s3
.LBB11_396:
	v_lshrrev_b32_e32 v4, 24, v4
	s_delay_alu instid0(VALU_DEP_1)
	v_and_or_b32 v7, 0x80, v4, v5
.LBB11_397:
	s_or_b32 exec_lo, exec_lo, s4
.LBB11_398:
	s_delay_alu instid0(SALU_CYCLE_1)
	s_or_b32 exec_lo, exec_lo, s2
	s_mov_b32 s2, 0
	global_store_b8 v[2:3], v7, off
.LBB11_399:
	s_and_b32 vcc_lo, exec_lo, s2
	s_cbranch_vccz .LBB11_409
; %bb.400:
	v_cvt_f32_f64_e32 v4, v[30:31]
	s_mov_b32 s2, exec_lo
                                        ; implicit-def: $vgpr5
	s_delay_alu instid0(VALU_DEP_1) | instskip(NEXT) | instid1(VALU_DEP_1)
	v_and_b32_e32 v7, 0x7fffffff, v4
	v_cmpx_gt_u32_e32 0x43f00000, v7
	s_xor_b32 s2, exec_lo, s2
	s_cbranch_execz .LBB11_406
; %bb.401:
	s_mov_b32 s3, exec_lo
                                        ; implicit-def: $vgpr5
	v_cmpx_lt_u32_e32 0x3c7fffff, v7
	s_xor_b32 s3, exec_lo, s3
; %bb.402:
	v_bfe_u32 v5, v4, 20, 1
	s_delay_alu instid0(VALU_DEP_1) | instskip(NEXT) | instid1(VALU_DEP_1)
	v_add3_u32 v5, v4, v5, 0x407ffff
	v_and_b32_e32 v7, 0xff00000, v5
	v_lshrrev_b32_e32 v5, 20, v5
	s_delay_alu instid0(VALU_DEP_2) | instskip(NEXT) | instid1(VALU_DEP_2)
	v_cmp_ne_u32_e32 vcc_lo, 0x7f00000, v7
	v_cndmask_b32_e32 v5, 0x7e, v5, vcc_lo
; %bb.403:
	s_and_not1_saveexec_b32 s3, s3
; %bb.404:
	v_add_f32_e64 v5, 0x46800000, |v4|
; %bb.405:
	s_or_b32 exec_lo, exec_lo, s3
                                        ; implicit-def: $vgpr7
.LBB11_406:
	s_and_not1_saveexec_b32 s2, s2
; %bb.407:
	v_mov_b32_e32 v5, 0x7f
	v_cmp_lt_u32_e32 vcc_lo, 0x7f800000, v7
	s_delay_alu instid0(VALU_DEP_2)
	v_cndmask_b32_e32 v5, 0x7e, v5, vcc_lo
; %bb.408:
	s_or_b32 exec_lo, exec_lo, s2
	v_lshrrev_b32_e32 v4, 24, v4
	s_delay_alu instid0(VALU_DEP_1)
	v_and_or_b32 v4, 0x80, v4, v5
	global_store_b8 v[2:3], v4, off
.LBB11_409:
	s_mov_b32 s2, 0
.LBB11_410:
	s_delay_alu instid0(SALU_CYCLE_1)
	s_and_not1_b32 vcc_lo, exec_lo, s2
	s_cbranch_vccnz .LBB11_420
; %bb.411:
	v_cvt_f32_f64_e32 v4, v[30:31]
	s_mov_b32 s2, exec_lo
                                        ; implicit-def: $vgpr5
	s_delay_alu instid0(VALU_DEP_1) | instskip(NEXT) | instid1(VALU_DEP_1)
	v_and_b32_e32 v7, 0x7fffffff, v4
	v_cmpx_gt_u32_e32 0x47800000, v7
	s_xor_b32 s2, exec_lo, s2
	s_cbranch_execz .LBB11_417
; %bb.412:
	s_mov_b32 s3, exec_lo
                                        ; implicit-def: $vgpr5
	v_cmpx_lt_u32_e32 0x387fffff, v7
	s_xor_b32 s3, exec_lo, s3
; %bb.413:
	v_bfe_u32 v5, v4, 21, 1
	s_delay_alu instid0(VALU_DEP_1) | instskip(NEXT) | instid1(VALU_DEP_1)
	v_add3_u32 v5, v4, v5, 0x80fffff
	v_lshrrev_b32_e32 v5, 21, v5
; %bb.414:
	s_and_not1_saveexec_b32 s3, s3
; %bb.415:
	v_add_f32_e64 v5, 0x43000000, |v4|
; %bb.416:
	s_or_b32 exec_lo, exec_lo, s3
                                        ; implicit-def: $vgpr7
.LBB11_417:
	s_and_not1_saveexec_b32 s2, s2
; %bb.418:
	v_mov_b32_e32 v5, 0x7f
	v_cmp_lt_u32_e32 vcc_lo, 0x7f800000, v7
	s_delay_alu instid0(VALU_DEP_2)
	v_cndmask_b32_e32 v5, 0x7c, v5, vcc_lo
; %bb.419:
	s_or_b32 exec_lo, exec_lo, s2
	v_lshrrev_b32_e32 v4, 24, v4
	s_delay_alu instid0(VALU_DEP_1)
	v_and_or_b32 v4, 0x80, v4, v5
	global_store_b8 v[2:3], v4, off
.LBB11_420:
	s_mov_b32 s2, 0
	s_mov_b32 s3, -1
.LBB11_421:
	s_and_not1_b32 vcc_lo, exec_lo, s2
	s_mov_b32 s2, 0
	s_cbranch_vccnz .LBB11_428
; %bb.422:
	v_cmp_lt_i16_e32 vcc_lo, 14, v6
	s_mov_b32 s2, -1
	s_cbranch_vccz .LBB11_426
; %bb.423:
	v_cmp_eq_u16_e32 vcc_lo, 15, v6
	s_mov_b32 s0, -1
	s_cbranch_vccz .LBB11_425
; %bb.424:
	v_cvt_f32_f64_e32 v4, v[30:31]
	s_mov_b32 s0, 0
	s_mov_b32 s3, -1
	s_delay_alu instid0(VALU_DEP_1) | instskip(SKIP_1) | instid1(VALU_DEP_2)
	v_bfe_u32 v5, v4, 16, 1
	v_cmp_o_f32_e32 vcc_lo, v4, v4
	v_add3_u32 v5, v4, v5, 0x7fff
	s_delay_alu instid0(VALU_DEP_1) | instskip(NEXT) | instid1(VALU_DEP_1)
	v_lshrrev_b32_e32 v5, 16, v5
	v_cndmask_b32_e32 v4, 0x7fc0, v5, vcc_lo
	global_store_b16 v[2:3], v4, off
.LBB11_425:
	s_mov_b32 s2, 0
.LBB11_426:
	s_delay_alu instid0(SALU_CYCLE_1)
	s_and_b32 vcc_lo, exec_lo, s2
	s_mov_b32 s2, 0
	s_cbranch_vccz .LBB11_428
; %bb.427:
	v_cmp_ne_u16_e64 s0, 11, v6
	s_mov_b32 s2, -1
.LBB11_428:
	s_delay_alu instid0(VALU_DEP_1)
	s_and_b32 vcc_lo, exec_lo, s0
	s_cbranch_vccnz .LBB11_781
; %bb.429:
	s_and_not1_b32 vcc_lo, exec_lo, s2
	s_cbranch_vccnz .LBB11_431
.LBB11_430:
	v_cmp_neq_f64_e32 vcc_lo, 0, v[30:31]
	s_mov_b32 s3, -1
	v_cndmask_b32_e64 v4, 0, 1, vcc_lo
	global_store_b8 v[2:3], v4, off
.LBB11_431:
	s_mov_b32 s0, 0
.LBB11_432:
	s_delay_alu instid0(SALU_CYCLE_1)
	s_and_b32 vcc_lo, exec_lo, s0
	s_cbranch_vccz .LBB11_471
; %bb.433:
	v_cmp_gt_i16_e32 vcc_lo, 5, v6
	s_mov_b32 s0, -1
	s_cbranch_vccnz .LBB11_454
; %bb.434:
	v_cmp_gt_i16_e32 vcc_lo, 8, v6
	s_cbranch_vccnz .LBB11_444
; %bb.435:
	v_cmp_gt_i16_e32 vcc_lo, 9, v6
	s_cbranch_vccnz .LBB11_441
; %bb.436:
	v_cmp_lt_i16_e32 vcc_lo, 9, v6
	s_cbranch_vccz .LBB11_438
; %bb.437:
	v_mov_b32_e32 v32, 0
	s_mov_b32 s0, 0
	s_delay_alu instid0(VALU_DEP_1)
	v_mov_b32_e32 v33, v32
	global_store_b128 v[2:3], v[30:33], off
.LBB11_438:
	s_and_not1_b32 vcc_lo, exec_lo, s0
	s_cbranch_vccnz .LBB11_440
; %bb.439:
	v_cvt_f32_f64_e32 v4, v[30:31]
	v_mov_b32_e32 v5, 0
	global_store_b64 v[2:3], v[4:5], off
.LBB11_440:
	s_mov_b32 s0, 0
.LBB11_441:
	s_delay_alu instid0(SALU_CYCLE_1)
	s_and_not1_b32 vcc_lo, exec_lo, s0
	s_cbranch_vccnz .LBB11_443
; %bb.442:
	v_cvt_f32_f64_e32 v4, v[30:31]
	s_delay_alu instid0(VALU_DEP_1) | instskip(NEXT) | instid1(VALU_DEP_1)
	v_cvt_f16_f32_e32 v4, v4
	v_and_b32_e32 v4, 0xffff, v4
	global_store_b32 v[2:3], v4, off
.LBB11_443:
	s_mov_b32 s0, 0
.LBB11_444:
	s_delay_alu instid0(SALU_CYCLE_1)
	s_and_not1_b32 vcc_lo, exec_lo, s0
	s_cbranch_vccnz .LBB11_453
; %bb.445:
	v_cmp_gt_i16_e32 vcc_lo, 6, v6
	s_mov_b32 s0, -1
	s_cbranch_vccnz .LBB11_451
; %bb.446:
	v_cmp_lt_i16_e32 vcc_lo, 6, v6
	s_cbranch_vccz .LBB11_448
; %bb.447:
	s_mov_b32 s0, 0
	global_store_b64 v[2:3], v[30:31], off
.LBB11_448:
	s_and_not1_b32 vcc_lo, exec_lo, s0
	s_cbranch_vccnz .LBB11_450
; %bb.449:
	v_cvt_f32_f64_e32 v4, v[30:31]
	global_store_b32 v[2:3], v4, off
.LBB11_450:
	s_mov_b32 s0, 0
.LBB11_451:
	s_delay_alu instid0(SALU_CYCLE_1)
	s_and_not1_b32 vcc_lo, exec_lo, s0
	s_cbranch_vccnz .LBB11_453
; %bb.452:
	v_cvt_f32_f64_e32 v4, v[30:31]
	s_delay_alu instid0(VALU_DEP_1)
	v_cvt_f16_f32_e32 v4, v4
	global_store_b16 v[2:3], v4, off
.LBB11_453:
	s_mov_b32 s0, 0
.LBB11_454:
	s_delay_alu instid0(SALU_CYCLE_1)
	s_and_not1_b32 vcc_lo, exec_lo, s0
	s_cbranch_vccnz .LBB11_470
; %bb.455:
	v_cmp_gt_i16_e32 vcc_lo, 2, v6
	s_mov_b32 s0, -1
	s_cbranch_vccnz .LBB11_465
; %bb.456:
	v_cmp_gt_i16_e32 vcc_lo, 3, v6
	s_cbranch_vccnz .LBB11_462
; %bb.457:
	v_cmp_lt_i16_e32 vcc_lo, 3, v6
	s_cbranch_vccz .LBB11_459
; %bb.458:
	v_trunc_f64_e32 v[4:5], v[30:31]
	s_mov_b32 s0, 0
	s_delay_alu instid0(VALU_DEP_1) | instskip(NEXT) | instid1(VALU_DEP_1)
	v_ldexp_f64 v[7:8], v[4:5], 0xffffffe0
	v_floor_f64_e32 v[7:8], v[7:8]
	s_delay_alu instid0(VALU_DEP_1) | instskip(SKIP_1) | instid1(VALU_DEP_2)
	v_fma_f64 v[4:5], 0xc1f00000, v[7:8], v[4:5]
	v_cvt_i32_f64_e32 v8, v[7:8]
	v_cvt_u32_f64_e32 v7, v[4:5]
	global_store_b64 v[2:3], v[7:8], off
.LBB11_459:
	s_and_not1_b32 vcc_lo, exec_lo, s0
	s_cbranch_vccnz .LBB11_461
; %bb.460:
	v_cvt_i32_f64_e32 v4, v[30:31]
	global_store_b32 v[2:3], v4, off
.LBB11_461:
	s_mov_b32 s0, 0
.LBB11_462:
	s_delay_alu instid0(SALU_CYCLE_1)
	s_and_not1_b32 vcc_lo, exec_lo, s0
	s_cbranch_vccnz .LBB11_464
; %bb.463:
	v_cvt_i32_f64_e32 v4, v[30:31]
	global_store_b16 v[2:3], v4, off
.LBB11_464:
	s_mov_b32 s0, 0
.LBB11_465:
	s_delay_alu instid0(SALU_CYCLE_1)
	s_and_not1_b32 vcc_lo, exec_lo, s0
	s_cbranch_vccnz .LBB11_470
; %bb.466:
	v_cmp_lt_i16_e32 vcc_lo, 0, v6
	s_mov_b32 s0, -1
	s_cbranch_vccz .LBB11_468
; %bb.467:
	v_cvt_i32_f64_e32 v4, v[30:31]
	s_mov_b32 s0, 0
	global_store_b8 v[2:3], v4, off
.LBB11_468:
	s_and_not1_b32 vcc_lo, exec_lo, s0
	s_cbranch_vccnz .LBB11_470
; %bb.469:
	v_trunc_f64_e32 v[4:5], v[30:31]
	s_delay_alu instid0(VALU_DEP_1) | instskip(NEXT) | instid1(VALU_DEP_1)
	v_ldexp_f64 v[7:8], v[4:5], 0xffffffe0
	v_floor_f64_e32 v[7:8], v[7:8]
	s_delay_alu instid0(VALU_DEP_1) | instskip(NEXT) | instid1(VALU_DEP_1)
	v_fma_f64 v[4:5], 0xc1f00000, v[7:8], v[4:5]
	v_cvt_u32_f64_e32 v4, v[4:5]
	global_store_b8 v[2:3], v4, off
.LBB11_470:
	s_mov_b32 s3, -1
.LBB11_471:
	s_delay_alu instid0(SALU_CYCLE_1)
	s_and_not1_b32 vcc_lo, exec_lo, s3
	s_cbranch_vccnz .LBB11_666
; %bb.472:
	v_cmp_gt_i16_e32 vcc_lo, 11, v6
	v_add_co_u32 v2, s0, s12, v37
	s_delay_alu instid0(VALU_DEP_1)
	v_add_co_ci_u32_e64 v3, null, s13, 0, s0
	s_mov_b32 s3, 0
	s_mov_b32 s0, -1
	s_cbranch_vccnz .LBB11_550
; %bb.473:
	v_cmp_lt_i16_e32 vcc_lo, 25, v6
	s_mov_b32 s4, -1
	s_mov_b32 s2, 0
	s_mov_b32 s0, 0
	s_cbranch_vccz .LBB11_506
; %bb.474:
	v_cmp_lt_i16_e32 vcc_lo, 28, v6
	s_cbranch_vccz .LBB11_489
; %bb.475:
	v_cmp_lt_i16_e32 vcc_lo, 43, v6
	;; [unrolled: 3-line block ×3, first 2 shown]
	s_cbranch_vccz .LBB11_479
; %bb.477:
	v_cmp_eq_u16_e32 vcc_lo, 46, v6
	s_mov_b32 s0, -1
	s_mov_b32 s4, 0
	s_cbranch_vccz .LBB11_479
; %bb.478:
	v_cvt_f32_f64_e32 v4, v[28:29]
	s_mov_b32 s0, 0
	s_mov_b32 s3, -1
	s_delay_alu instid0(VALU_DEP_1) | instskip(SKIP_1) | instid1(VALU_DEP_2)
	v_bfe_u32 v5, v4, 16, 1
	v_cmp_o_f32_e32 vcc_lo, v4, v4
	v_add3_u32 v5, v4, v5, 0x7fff
	s_delay_alu instid0(VALU_DEP_1) | instskip(NEXT) | instid1(VALU_DEP_1)
	v_lshrrev_b32_e32 v5, 16, v5
	v_cndmask_b32_e32 v4, 0x7fc0, v5, vcc_lo
	global_store_b32 v[2:3], v4, off
.LBB11_479:
	s_and_b32 vcc_lo, exec_lo, s4
	s_cbranch_vccz .LBB11_484
; %bb.480:
	v_cmp_eq_u16_e32 vcc_lo, 44, v6
	s_mov_b32 s0, -1
	s_cbranch_vccz .LBB11_484
; %bb.481:
	v_cvt_f32_f64_e32 v4, v[28:29]
	v_mov_b32_e32 v5, 0xff
	s_mov_b32 s3, exec_lo
	s_delay_alu instid0(VALU_DEP_2) | instskip(NEXT) | instid1(VALU_DEP_1)
	v_bfe_u32 v7, v4, 23, 8
	v_cmpx_ne_u32_e32 0xff, v7
; %bb.482:
	v_and_b32_e32 v5, 0x400000, v4
	v_and_or_b32 v7, 0x3fffff, v4, v7
	v_lshrrev_b32_e32 v4, 23, v4
	s_delay_alu instid0(VALU_DEP_3) | instskip(NEXT) | instid1(VALU_DEP_3)
	v_cmp_ne_u32_e32 vcc_lo, 0, v5
	v_cmp_ne_u32_e64 s0, 0, v7
	s_delay_alu instid0(VALU_DEP_1) | instskip(NEXT) | instid1(SALU_CYCLE_1)
	s_and_b32 s0, vcc_lo, s0
	v_cndmask_b32_e64 v5, 0, 1, s0
	s_delay_alu instid0(VALU_DEP_1)
	v_add_nc_u32_e32 v5, v4, v5
; %bb.483:
	s_or_b32 exec_lo, exec_lo, s3
	s_mov_b32 s0, 0
	s_mov_b32 s3, -1
	global_store_b8 v[2:3], v5, off
.LBB11_484:
	s_mov_b32 s4, 0
.LBB11_485:
	s_delay_alu instid0(SALU_CYCLE_1)
	s_and_b32 vcc_lo, exec_lo, s4
	s_cbranch_vccz .LBB11_488
; %bb.486:
	v_cmp_eq_u16_e32 vcc_lo, 29, v6
	s_mov_b32 s0, -1
	s_cbranch_vccz .LBB11_488
; %bb.487:
	v_trunc_f64_e32 v[4:5], v[28:29]
	s_mov_b32 s0, 0
	s_mov_b32 s3, -1
	s_delay_alu instid0(VALU_DEP_1) | instskip(NEXT) | instid1(VALU_DEP_1)
	v_ldexp_f64 v[7:8], v[4:5], 0xffffffe0
	v_floor_f64_e32 v[7:8], v[7:8]
	s_delay_alu instid0(VALU_DEP_1) | instskip(SKIP_1) | instid1(VALU_DEP_2)
	v_fma_f64 v[4:5], 0xc1f00000, v[7:8], v[4:5]
	v_cvt_u32_f64_e32 v8, v[7:8]
	v_cvt_u32_f64_e32 v7, v[4:5]
	global_store_b64 v[2:3], v[7:8], off
.LBB11_488:
	s_mov_b32 s4, 0
.LBB11_489:
	s_delay_alu instid0(SALU_CYCLE_1)
	s_and_b32 vcc_lo, exec_lo, s4
	s_cbranch_vccz .LBB11_505
; %bb.490:
	v_cmp_gt_i16_e32 vcc_lo, 27, v6
	s_mov_b32 s3, -1
	s_cbranch_vccnz .LBB11_496
; %bb.491:
	v_cvt_u32_f64_e32 v4, v[28:29]
	v_cmp_lt_i16_e32 vcc_lo, 27, v6
	s_cbranch_vccz .LBB11_493
; %bb.492:
	s_mov_b32 s3, 0
	global_store_b32 v[2:3], v4, off
.LBB11_493:
	s_and_not1_b32 vcc_lo, exec_lo, s3
	s_cbranch_vccnz .LBB11_495
; %bb.494:
	global_store_b16 v[2:3], v4, off
.LBB11_495:
	s_mov_b32 s3, 0
.LBB11_496:
	s_delay_alu instid0(SALU_CYCLE_1)
	s_and_not1_b32 vcc_lo, exec_lo, s3
	s_cbranch_vccnz .LBB11_504
; %bb.497:
	v_cvt_f32_f64_e32 v4, v[28:29]
	v_mov_b32_e32 v7, 0x80
	s_mov_b32 s3, exec_lo
	s_delay_alu instid0(VALU_DEP_2) | instskip(NEXT) | instid1(VALU_DEP_1)
	v_and_b32_e32 v5, 0x7fffffff, v4
	v_cmpx_gt_u32_e32 0x43800000, v5
	s_cbranch_execz .LBB11_503
; %bb.498:
	v_cmp_lt_u32_e32 vcc_lo, 0x3bffffff, v5
	s_mov_b32 s4, 0
                                        ; implicit-def: $vgpr5
	s_and_saveexec_b32 s5, vcc_lo
	s_delay_alu instid0(SALU_CYCLE_1)
	s_xor_b32 s5, exec_lo, s5
	s_cbranch_execz .LBB11_927
; %bb.499:
	v_bfe_u32 v5, v4, 20, 1
	s_mov_b32 s4, exec_lo
	s_delay_alu instid0(VALU_DEP_1) | instskip(NEXT) | instid1(VALU_DEP_1)
	v_add3_u32 v5, v4, v5, 0x487ffff
	v_lshrrev_b32_e32 v5, 20, v5
	s_or_saveexec_b32 s5, s5
                                        ; implicit-def: $sgpr6
	s_delay_alu instid0(SALU_CYCLE_1)
	s_xor_b32 exec_lo, exec_lo, s5
	s_cbranch_execnz .LBB11_928
.LBB11_500:
	s_or_b32 exec_lo, exec_lo, s5
	v_mov_b32_e32 v7, s6
	s_and_saveexec_b32 s5, s4
.LBB11_501:
	v_lshrrev_b32_e32 v4, 24, v4
	s_delay_alu instid0(VALU_DEP_1)
	v_and_or_b32 v7, 0x80, v4, v5
.LBB11_502:
	s_or_b32 exec_lo, exec_lo, s5
.LBB11_503:
	s_delay_alu instid0(SALU_CYCLE_1)
	s_or_b32 exec_lo, exec_lo, s3
	global_store_b8 v[2:3], v7, off
.LBB11_504:
	s_mov_b32 s3, -1
.LBB11_505:
	s_mov_b32 s4, 0
.LBB11_506:
	s_delay_alu instid0(SALU_CYCLE_1)
	s_and_b32 vcc_lo, exec_lo, s4
	s_cbranch_vccz .LBB11_546
; %bb.507:
	v_cmp_lt_i16_e32 vcc_lo, 22, v6
	s_mov_b32 s2, -1
	s_cbranch_vccz .LBB11_539
; %bb.508:
	v_cmp_gt_i16_e32 vcc_lo, 24, v6
	s_cbranch_vccnz .LBB11_528
; %bb.509:
	v_cmp_lt_i16_e32 vcc_lo, 24, v6
	s_cbranch_vccz .LBB11_517
; %bb.510:
	v_cvt_f32_f64_e32 v4, v[28:29]
	v_mov_b32_e32 v7, 0x80
	s_mov_b32 s2, exec_lo
	s_delay_alu instid0(VALU_DEP_2) | instskip(NEXT) | instid1(VALU_DEP_1)
	v_and_b32_e32 v5, 0x7fffffff, v4
	v_cmpx_gt_u32_e32 0x47800000, v5
	s_cbranch_execz .LBB11_516
; %bb.511:
	v_cmp_lt_u32_e32 vcc_lo, 0x37ffffff, v5
	s_mov_b32 s3, 0
                                        ; implicit-def: $vgpr5
	s_and_saveexec_b32 s4, vcc_lo
	s_delay_alu instid0(SALU_CYCLE_1)
	s_xor_b32 s4, exec_lo, s4
	s_cbranch_execz .LBB11_1108
; %bb.512:
	v_bfe_u32 v5, v4, 21, 1
	s_mov_b32 s3, exec_lo
	s_delay_alu instid0(VALU_DEP_1) | instskip(NEXT) | instid1(VALU_DEP_1)
	v_add3_u32 v5, v4, v5, 0x88fffff
	v_lshrrev_b32_e32 v5, 21, v5
	s_or_saveexec_b32 s4, s4
                                        ; implicit-def: $sgpr5
	s_delay_alu instid0(SALU_CYCLE_1)
	s_xor_b32 exec_lo, exec_lo, s4
	s_cbranch_execnz .LBB11_1109
.LBB11_513:
	s_or_b32 exec_lo, exec_lo, s4
	v_mov_b32_e32 v7, s5
	s_and_saveexec_b32 s4, s3
.LBB11_514:
	v_lshrrev_b32_e32 v4, 24, v4
	s_delay_alu instid0(VALU_DEP_1)
	v_and_or_b32 v7, 0x80, v4, v5
.LBB11_515:
	s_or_b32 exec_lo, exec_lo, s4
.LBB11_516:
	s_delay_alu instid0(SALU_CYCLE_1)
	s_or_b32 exec_lo, exec_lo, s2
	s_mov_b32 s2, 0
	global_store_b8 v[2:3], v7, off
.LBB11_517:
	s_and_b32 vcc_lo, exec_lo, s2
	s_cbranch_vccz .LBB11_527
; %bb.518:
	v_cvt_f32_f64_e32 v4, v[28:29]
	s_mov_b32 s2, exec_lo
                                        ; implicit-def: $vgpr5
	s_delay_alu instid0(VALU_DEP_1) | instskip(NEXT) | instid1(VALU_DEP_1)
	v_and_b32_e32 v7, 0x7fffffff, v4
	v_cmpx_gt_u32_e32 0x43f00000, v7
	s_xor_b32 s2, exec_lo, s2
	s_cbranch_execz .LBB11_524
; %bb.519:
	s_mov_b32 s3, exec_lo
                                        ; implicit-def: $vgpr5
	v_cmpx_lt_u32_e32 0x3c7fffff, v7
	s_xor_b32 s3, exec_lo, s3
; %bb.520:
	v_bfe_u32 v5, v4, 20, 1
	s_delay_alu instid0(VALU_DEP_1) | instskip(NEXT) | instid1(VALU_DEP_1)
	v_add3_u32 v5, v4, v5, 0x407ffff
	v_and_b32_e32 v7, 0xff00000, v5
	v_lshrrev_b32_e32 v5, 20, v5
	s_delay_alu instid0(VALU_DEP_2) | instskip(NEXT) | instid1(VALU_DEP_2)
	v_cmp_ne_u32_e32 vcc_lo, 0x7f00000, v7
	v_cndmask_b32_e32 v5, 0x7e, v5, vcc_lo
; %bb.521:
	s_and_not1_saveexec_b32 s3, s3
; %bb.522:
	v_add_f32_e64 v5, 0x46800000, |v4|
; %bb.523:
	s_or_b32 exec_lo, exec_lo, s3
                                        ; implicit-def: $vgpr7
.LBB11_524:
	s_and_not1_saveexec_b32 s2, s2
; %bb.525:
	v_mov_b32_e32 v5, 0x7f
	v_cmp_lt_u32_e32 vcc_lo, 0x7f800000, v7
	s_delay_alu instid0(VALU_DEP_2)
	v_cndmask_b32_e32 v5, 0x7e, v5, vcc_lo
; %bb.526:
	s_or_b32 exec_lo, exec_lo, s2
	v_lshrrev_b32_e32 v4, 24, v4
	s_delay_alu instid0(VALU_DEP_1)
	v_and_or_b32 v4, 0x80, v4, v5
	global_store_b8 v[2:3], v4, off
.LBB11_527:
	s_mov_b32 s2, 0
.LBB11_528:
	s_delay_alu instid0(SALU_CYCLE_1)
	s_and_not1_b32 vcc_lo, exec_lo, s2
	s_cbranch_vccnz .LBB11_538
; %bb.529:
	v_cvt_f32_f64_e32 v4, v[28:29]
	s_mov_b32 s2, exec_lo
                                        ; implicit-def: $vgpr5
	s_delay_alu instid0(VALU_DEP_1) | instskip(NEXT) | instid1(VALU_DEP_1)
	v_and_b32_e32 v7, 0x7fffffff, v4
	v_cmpx_gt_u32_e32 0x47800000, v7
	s_xor_b32 s2, exec_lo, s2
	s_cbranch_execz .LBB11_535
; %bb.530:
	s_mov_b32 s3, exec_lo
                                        ; implicit-def: $vgpr5
	v_cmpx_lt_u32_e32 0x387fffff, v7
	s_xor_b32 s3, exec_lo, s3
; %bb.531:
	v_bfe_u32 v5, v4, 21, 1
	s_delay_alu instid0(VALU_DEP_1) | instskip(NEXT) | instid1(VALU_DEP_1)
	v_add3_u32 v5, v4, v5, 0x80fffff
	v_lshrrev_b32_e32 v5, 21, v5
; %bb.532:
	s_and_not1_saveexec_b32 s3, s3
; %bb.533:
	v_add_f32_e64 v5, 0x43000000, |v4|
; %bb.534:
	s_or_b32 exec_lo, exec_lo, s3
                                        ; implicit-def: $vgpr7
.LBB11_535:
	s_and_not1_saveexec_b32 s2, s2
; %bb.536:
	v_mov_b32_e32 v5, 0x7f
	v_cmp_lt_u32_e32 vcc_lo, 0x7f800000, v7
	s_delay_alu instid0(VALU_DEP_2)
	v_cndmask_b32_e32 v5, 0x7c, v5, vcc_lo
; %bb.537:
	s_or_b32 exec_lo, exec_lo, s2
	v_lshrrev_b32_e32 v4, 24, v4
	s_delay_alu instid0(VALU_DEP_1)
	v_and_or_b32 v4, 0x80, v4, v5
	global_store_b8 v[2:3], v4, off
.LBB11_538:
	s_mov_b32 s2, 0
	s_mov_b32 s3, -1
.LBB11_539:
	s_and_not1_b32 vcc_lo, exec_lo, s2
	s_mov_b32 s2, 0
	s_cbranch_vccnz .LBB11_546
; %bb.540:
	v_cmp_lt_i16_e32 vcc_lo, 14, v6
	s_mov_b32 s2, -1
	s_cbranch_vccz .LBB11_544
; %bb.541:
	v_cmp_eq_u16_e32 vcc_lo, 15, v6
	s_mov_b32 s0, -1
	s_cbranch_vccz .LBB11_543
; %bb.542:
	v_cvt_f32_f64_e32 v4, v[28:29]
	s_mov_b32 s0, 0
	s_mov_b32 s3, -1
	s_delay_alu instid0(VALU_DEP_1) | instskip(SKIP_1) | instid1(VALU_DEP_2)
	v_bfe_u32 v5, v4, 16, 1
	v_cmp_o_f32_e32 vcc_lo, v4, v4
	v_add3_u32 v5, v4, v5, 0x7fff
	s_delay_alu instid0(VALU_DEP_1) | instskip(NEXT) | instid1(VALU_DEP_1)
	v_lshrrev_b32_e32 v5, 16, v5
	v_cndmask_b32_e32 v4, 0x7fc0, v5, vcc_lo
	global_store_b16 v[2:3], v4, off
.LBB11_543:
	s_mov_b32 s2, 0
.LBB11_544:
	s_delay_alu instid0(SALU_CYCLE_1)
	s_and_b32 vcc_lo, exec_lo, s2
	s_mov_b32 s2, 0
	s_cbranch_vccz .LBB11_546
; %bb.545:
	v_cmp_ne_u16_e64 s0, 11, v6
	s_mov_b32 s2, -1
.LBB11_546:
	s_delay_alu instid0(VALU_DEP_1)
	s_and_b32 vcc_lo, exec_lo, s0
	s_cbranch_vccnz .LBB11_931
; %bb.547:
	s_and_not1_b32 vcc_lo, exec_lo, s2
	s_cbranch_vccnz .LBB11_549
.LBB11_548:
	v_cmp_neq_f64_e32 vcc_lo, 0, v[28:29]
	s_mov_b32 s3, -1
	v_cndmask_b32_e64 v4, 0, 1, vcc_lo
	global_store_b8 v[2:3], v4, off
.LBB11_549:
	s_mov_b32 s0, 0
.LBB11_550:
	s_delay_alu instid0(SALU_CYCLE_1)
	s_and_b32 vcc_lo, exec_lo, s0
	s_cbranch_vccz .LBB11_589
; %bb.551:
	v_cmp_gt_i16_e32 vcc_lo, 5, v6
	s_mov_b32 s0, -1
	s_cbranch_vccnz .LBB11_572
; %bb.552:
	v_cmp_gt_i16_e32 vcc_lo, 8, v6
	s_cbranch_vccnz .LBB11_562
; %bb.553:
	v_cmp_gt_i16_e32 vcc_lo, 9, v6
	s_cbranch_vccnz .LBB11_559
; %bb.554:
	v_cmp_lt_i16_e32 vcc_lo, 9, v6
	s_cbranch_vccz .LBB11_556
; %bb.555:
	v_mov_b32_e32 v30, 0
	s_mov_b32 s0, 0
	s_delay_alu instid0(VALU_DEP_1)
	v_mov_b32_e32 v31, v30
	global_store_b128 v[2:3], v[28:31], off
.LBB11_556:
	s_and_not1_b32 vcc_lo, exec_lo, s0
	s_cbranch_vccnz .LBB11_558
; %bb.557:
	v_cvt_f32_f64_e32 v4, v[28:29]
	v_mov_b32_e32 v5, 0
	global_store_b64 v[2:3], v[4:5], off
.LBB11_558:
	s_mov_b32 s0, 0
.LBB11_559:
	s_delay_alu instid0(SALU_CYCLE_1)
	s_and_not1_b32 vcc_lo, exec_lo, s0
	s_cbranch_vccnz .LBB11_561
; %bb.560:
	v_cvt_f32_f64_e32 v4, v[28:29]
	s_delay_alu instid0(VALU_DEP_1) | instskip(NEXT) | instid1(VALU_DEP_1)
	v_cvt_f16_f32_e32 v4, v4
	v_and_b32_e32 v4, 0xffff, v4
	global_store_b32 v[2:3], v4, off
.LBB11_561:
	s_mov_b32 s0, 0
.LBB11_562:
	s_delay_alu instid0(SALU_CYCLE_1)
	s_and_not1_b32 vcc_lo, exec_lo, s0
	s_cbranch_vccnz .LBB11_571
; %bb.563:
	v_cmp_gt_i16_e32 vcc_lo, 6, v6
	s_mov_b32 s0, -1
	s_cbranch_vccnz .LBB11_569
; %bb.564:
	v_cmp_lt_i16_e32 vcc_lo, 6, v6
	s_cbranch_vccz .LBB11_566
; %bb.565:
	s_mov_b32 s0, 0
	global_store_b64 v[2:3], v[28:29], off
.LBB11_566:
	s_and_not1_b32 vcc_lo, exec_lo, s0
	s_cbranch_vccnz .LBB11_568
; %bb.567:
	v_cvt_f32_f64_e32 v4, v[28:29]
	global_store_b32 v[2:3], v4, off
.LBB11_568:
	s_mov_b32 s0, 0
.LBB11_569:
	s_delay_alu instid0(SALU_CYCLE_1)
	s_and_not1_b32 vcc_lo, exec_lo, s0
	s_cbranch_vccnz .LBB11_571
; %bb.570:
	v_cvt_f32_f64_e32 v4, v[28:29]
	s_delay_alu instid0(VALU_DEP_1)
	v_cvt_f16_f32_e32 v4, v4
	global_store_b16 v[2:3], v4, off
.LBB11_571:
	s_mov_b32 s0, 0
.LBB11_572:
	s_delay_alu instid0(SALU_CYCLE_1)
	s_and_not1_b32 vcc_lo, exec_lo, s0
	s_cbranch_vccnz .LBB11_588
; %bb.573:
	v_cmp_gt_i16_e32 vcc_lo, 2, v6
	s_mov_b32 s0, -1
	s_cbranch_vccnz .LBB11_583
; %bb.574:
	v_cmp_gt_i16_e32 vcc_lo, 3, v6
	s_cbranch_vccnz .LBB11_580
; %bb.575:
	v_cmp_lt_i16_e32 vcc_lo, 3, v6
	s_cbranch_vccz .LBB11_577
; %bb.576:
	v_trunc_f64_e32 v[4:5], v[28:29]
	s_mov_b32 s0, 0
	s_delay_alu instid0(VALU_DEP_1) | instskip(NEXT) | instid1(VALU_DEP_1)
	v_ldexp_f64 v[7:8], v[4:5], 0xffffffe0
	v_floor_f64_e32 v[7:8], v[7:8]
	s_delay_alu instid0(VALU_DEP_1) | instskip(SKIP_1) | instid1(VALU_DEP_2)
	v_fma_f64 v[4:5], 0xc1f00000, v[7:8], v[4:5]
	v_cvt_i32_f64_e32 v8, v[7:8]
	v_cvt_u32_f64_e32 v7, v[4:5]
	global_store_b64 v[2:3], v[7:8], off
.LBB11_577:
	s_and_not1_b32 vcc_lo, exec_lo, s0
	s_cbranch_vccnz .LBB11_579
; %bb.578:
	v_cvt_i32_f64_e32 v4, v[28:29]
	global_store_b32 v[2:3], v4, off
.LBB11_579:
	s_mov_b32 s0, 0
.LBB11_580:
	s_delay_alu instid0(SALU_CYCLE_1)
	s_and_not1_b32 vcc_lo, exec_lo, s0
	s_cbranch_vccnz .LBB11_582
; %bb.581:
	v_cvt_i32_f64_e32 v4, v[28:29]
	global_store_b16 v[2:3], v4, off
.LBB11_582:
	s_mov_b32 s0, 0
.LBB11_583:
	s_delay_alu instid0(SALU_CYCLE_1)
	s_and_not1_b32 vcc_lo, exec_lo, s0
	s_cbranch_vccnz .LBB11_588
; %bb.584:
	v_cmp_lt_i16_e32 vcc_lo, 0, v6
	s_mov_b32 s0, -1
	s_cbranch_vccz .LBB11_586
; %bb.585:
	v_cvt_i32_f64_e32 v4, v[28:29]
	s_mov_b32 s0, 0
	global_store_b8 v[2:3], v4, off
.LBB11_586:
	s_and_not1_b32 vcc_lo, exec_lo, s0
	s_cbranch_vccnz .LBB11_588
; %bb.587:
	v_trunc_f64_e32 v[4:5], v[28:29]
	s_delay_alu instid0(VALU_DEP_1) | instskip(NEXT) | instid1(VALU_DEP_1)
	v_ldexp_f64 v[7:8], v[4:5], 0xffffffe0
	v_floor_f64_e32 v[7:8], v[7:8]
	s_delay_alu instid0(VALU_DEP_1) | instskip(NEXT) | instid1(VALU_DEP_1)
	v_fma_f64 v[4:5], 0xc1f00000, v[7:8], v[4:5]
	v_cvt_u32_f64_e32 v4, v[4:5]
	global_store_b8 v[2:3], v4, off
.LBB11_588:
	s_mov_b32 s3, -1
.LBB11_589:
	s_delay_alu instid0(SALU_CYCLE_1)
	s_and_not1_b32 vcc_lo, exec_lo, s3
	s_cbranch_vccnz .LBB11_666
; %bb.590:
	v_cmp_gt_i16_e32 vcc_lo, 11, v6
	v_add_co_u32 v4, s0, s12, v36
	s_delay_alu instid0(VALU_DEP_1)
	v_add_co_ci_u32_e64 v5, null, s13, 0, s0
	s_mov_b32 s2, 0
	s_mov_b32 s0, -1
	s_cbranch_vccnz .LBB11_667
; %bb.591:
	v_cmp_lt_i16_e32 vcc_lo, 25, v6
	s_mov_b32 s3, -1
	s_mov_b32 s0, 0
	s_cbranch_vccz .LBB11_624
; %bb.592:
	v_cmp_lt_i16_e32 vcc_lo, 28, v6
	s_cbranch_vccz .LBB11_608
; %bb.593:
	v_cmp_lt_i16_e32 vcc_lo, 43, v6
	;; [unrolled: 3-line block ×3, first 2 shown]
	s_cbranch_vccz .LBB11_598
; %bb.595:
	v_cmp_eq_u16_e32 vcc_lo, 46, v6
	s_mov_b32 s0, -1
	s_cbranch_vccz .LBB11_597
; %bb.596:
	v_cvt_f32_f64_e32 v2, v[0:1]
	s_mov_b32 s0, 0
	s_delay_alu instid0(VALU_DEP_1) | instskip(SKIP_1) | instid1(VALU_DEP_2)
	v_bfe_u32 v3, v2, 16, 1
	v_cmp_o_f32_e32 vcc_lo, v2, v2
	v_add3_u32 v3, v2, v3, 0x7fff
	s_delay_alu instid0(VALU_DEP_1) | instskip(NEXT) | instid1(VALU_DEP_1)
	v_lshrrev_b32_e32 v3, 16, v3
	v_cndmask_b32_e32 v2, 0x7fc0, v3, vcc_lo
	global_store_b32 v[4:5], v2, off
.LBB11_597:
	s_mov_b32 s3, 0
.LBB11_598:
	s_delay_alu instid0(SALU_CYCLE_1)
	s_and_b32 vcc_lo, exec_lo, s3
	s_cbranch_vccz .LBB11_603
; %bb.599:
	v_cmp_eq_u16_e32 vcc_lo, 44, v6
	s_mov_b32 s0, -1
	s_cbranch_vccz .LBB11_603
; %bb.600:
	v_cvt_f32_f64_e32 v2, v[0:1]
	v_mov_b32_e32 v3, 0xff
	s_mov_b32 s3, exec_lo
	s_delay_alu instid0(VALU_DEP_2) | instskip(NEXT) | instid1(VALU_DEP_1)
	v_bfe_u32 v7, v2, 23, 8
	v_cmpx_ne_u32_e32 0xff, v7
; %bb.601:
	v_and_b32_e32 v3, 0x400000, v2
	v_and_or_b32 v7, 0x3fffff, v2, v7
	v_lshrrev_b32_e32 v2, 23, v2
	s_delay_alu instid0(VALU_DEP_3) | instskip(NEXT) | instid1(VALU_DEP_3)
	v_cmp_ne_u32_e32 vcc_lo, 0, v3
	v_cmp_ne_u32_e64 s0, 0, v7
	s_delay_alu instid0(VALU_DEP_1) | instskip(NEXT) | instid1(SALU_CYCLE_1)
	s_and_b32 s0, vcc_lo, s0
	v_cndmask_b32_e64 v3, 0, 1, s0
	s_delay_alu instid0(VALU_DEP_1)
	v_add_nc_u32_e32 v3, v2, v3
; %bb.602:
	s_or_b32 exec_lo, exec_lo, s3
	s_mov_b32 s0, 0
	global_store_b8 v[4:5], v3, off
.LBB11_603:
	s_mov_b32 s3, 0
.LBB11_604:
	s_delay_alu instid0(SALU_CYCLE_1)
	s_and_b32 vcc_lo, exec_lo, s3
	s_cbranch_vccz .LBB11_607
; %bb.605:
	v_cmp_eq_u16_e32 vcc_lo, 29, v6
	s_mov_b32 s0, -1
	s_cbranch_vccz .LBB11_607
; %bb.606:
	v_trunc_f64_e32 v[2:3], v[0:1]
	s_mov_b32 s0, 0
	s_delay_alu instid0(VALU_DEP_1) | instskip(NEXT) | instid1(VALU_DEP_1)
	v_ldexp_f64 v[7:8], v[2:3], 0xffffffe0
	v_floor_f64_e32 v[7:8], v[7:8]
	s_delay_alu instid0(VALU_DEP_1) | instskip(SKIP_1) | instid1(VALU_DEP_2)
	v_fma_f64 v[2:3], 0xc1f00000, v[7:8], v[2:3]
	v_cvt_u32_f64_e32 v8, v[7:8]
	v_cvt_u32_f64_e32 v7, v[2:3]
	global_store_b64 v[4:5], v[7:8], off
.LBB11_607:
	s_mov_b32 s3, 0
.LBB11_608:
	s_delay_alu instid0(SALU_CYCLE_1)
	s_and_b32 vcc_lo, exec_lo, s3
	s_cbranch_vccz .LBB11_623
; %bb.609:
	v_cmp_gt_i16_e32 vcc_lo, 27, v6
	s_mov_b32 s3, -1
	s_cbranch_vccnz .LBB11_615
; %bb.610:
	v_cvt_u32_f64_e32 v2, v[0:1]
	v_cmp_lt_i16_e32 vcc_lo, 27, v6
	s_cbranch_vccz .LBB11_612
; %bb.611:
	s_mov_b32 s3, 0
	global_store_b32 v[4:5], v2, off
.LBB11_612:
	s_and_not1_b32 vcc_lo, exec_lo, s3
	s_cbranch_vccnz .LBB11_614
; %bb.613:
	global_store_b16 v[4:5], v2, off
.LBB11_614:
	s_mov_b32 s3, 0
.LBB11_615:
	s_delay_alu instid0(SALU_CYCLE_1)
	s_and_not1_b32 vcc_lo, exec_lo, s3
	s_cbranch_vccnz .LBB11_623
; %bb.616:
	v_cvt_f32_f64_e32 v2, v[0:1]
	v_mov_b32_e32 v7, 0x80
	s_mov_b32 s3, exec_lo
	s_delay_alu instid0(VALU_DEP_2) | instskip(NEXT) | instid1(VALU_DEP_1)
	v_and_b32_e32 v3, 0x7fffffff, v2
	v_cmpx_gt_u32_e32 0x43800000, v3
	s_cbranch_execz .LBB11_622
; %bb.617:
	v_cmp_lt_u32_e32 vcc_lo, 0x3bffffff, v3
	s_mov_b32 s4, 0
                                        ; implicit-def: $vgpr3
	s_and_saveexec_b32 s5, vcc_lo
	s_delay_alu instid0(SALU_CYCLE_1)
	s_xor_b32 s5, exec_lo, s5
	s_cbranch_execz .LBB11_1110
; %bb.618:
	v_bfe_u32 v3, v2, 20, 1
	s_mov_b32 s4, exec_lo
	s_delay_alu instid0(VALU_DEP_1) | instskip(NEXT) | instid1(VALU_DEP_1)
	v_add3_u32 v3, v2, v3, 0x487ffff
	v_lshrrev_b32_e32 v3, 20, v3
	s_or_saveexec_b32 s5, s5
                                        ; implicit-def: $sgpr6
	s_delay_alu instid0(SALU_CYCLE_1)
	s_xor_b32 exec_lo, exec_lo, s5
	s_cbranch_execnz .LBB11_1111
.LBB11_619:
	s_or_b32 exec_lo, exec_lo, s5
	v_mov_b32_e32 v7, s6
	s_and_saveexec_b32 s5, s4
.LBB11_620:
	v_lshrrev_b32_e32 v2, 24, v2
	s_delay_alu instid0(VALU_DEP_1)
	v_and_or_b32 v7, 0x80, v2, v3
.LBB11_621:
	s_or_b32 exec_lo, exec_lo, s5
.LBB11_622:
	s_delay_alu instid0(SALU_CYCLE_1)
	s_or_b32 exec_lo, exec_lo, s3
	global_store_b8 v[4:5], v7, off
.LBB11_623:
	s_mov_b32 s3, 0
.LBB11_624:
	s_delay_alu instid0(SALU_CYCLE_1)
	s_and_b32 vcc_lo, exec_lo, s3
	s_cbranch_vccz .LBB11_664
; %bb.625:
	v_cmp_lt_i16_e32 vcc_lo, 22, v6
	s_mov_b32 s2, -1
	s_cbranch_vccz .LBB11_657
; %bb.626:
	v_cmp_gt_i16_e32 vcc_lo, 24, v6
	s_cbranch_vccnz .LBB11_646
; %bb.627:
	v_cmp_lt_i16_e32 vcc_lo, 24, v6
	s_cbranch_vccz .LBB11_635
; %bb.628:
	v_cvt_f32_f64_e32 v2, v[0:1]
	v_mov_b32_e32 v7, 0x80
	s_mov_b32 s2, exec_lo
	s_delay_alu instid0(VALU_DEP_2) | instskip(NEXT) | instid1(VALU_DEP_1)
	v_and_b32_e32 v3, 0x7fffffff, v2
	v_cmpx_gt_u32_e32 0x47800000, v3
	s_cbranch_execz .LBB11_634
; %bb.629:
	v_cmp_lt_u32_e32 vcc_lo, 0x37ffffff, v3
	s_mov_b32 s3, 0
                                        ; implicit-def: $vgpr3
	s_and_saveexec_b32 s4, vcc_lo
	s_delay_alu instid0(SALU_CYCLE_1)
	s_xor_b32 s4, exec_lo, s4
	s_cbranch_execz .LBB11_1120
; %bb.630:
	v_bfe_u32 v3, v2, 21, 1
	s_mov_b32 s3, exec_lo
	s_delay_alu instid0(VALU_DEP_1) | instskip(NEXT) | instid1(VALU_DEP_1)
	v_add3_u32 v3, v2, v3, 0x88fffff
	v_lshrrev_b32_e32 v3, 21, v3
	s_or_saveexec_b32 s4, s4
                                        ; implicit-def: $sgpr5
	s_delay_alu instid0(SALU_CYCLE_1)
	s_xor_b32 exec_lo, exec_lo, s4
	s_cbranch_execnz .LBB11_1121
.LBB11_631:
	s_or_b32 exec_lo, exec_lo, s4
	v_mov_b32_e32 v7, s5
	s_and_saveexec_b32 s4, s3
.LBB11_632:
	v_lshrrev_b32_e32 v2, 24, v2
	s_delay_alu instid0(VALU_DEP_1)
	v_and_or_b32 v7, 0x80, v2, v3
.LBB11_633:
	s_or_b32 exec_lo, exec_lo, s4
.LBB11_634:
	s_delay_alu instid0(SALU_CYCLE_1)
	s_or_b32 exec_lo, exec_lo, s2
	s_mov_b32 s2, 0
	global_store_b8 v[4:5], v7, off
.LBB11_635:
	s_and_b32 vcc_lo, exec_lo, s2
	s_cbranch_vccz .LBB11_645
; %bb.636:
	v_cvt_f32_f64_e32 v2, v[0:1]
	s_mov_b32 s2, exec_lo
                                        ; implicit-def: $vgpr3
	s_delay_alu instid0(VALU_DEP_1) | instskip(NEXT) | instid1(VALU_DEP_1)
	v_and_b32_e32 v7, 0x7fffffff, v2
	v_cmpx_gt_u32_e32 0x43f00000, v7
	s_xor_b32 s2, exec_lo, s2
	s_cbranch_execz .LBB11_642
; %bb.637:
	s_mov_b32 s3, exec_lo
                                        ; implicit-def: $vgpr3
	v_cmpx_lt_u32_e32 0x3c7fffff, v7
	s_xor_b32 s3, exec_lo, s3
; %bb.638:
	v_bfe_u32 v3, v2, 20, 1
	s_delay_alu instid0(VALU_DEP_1) | instskip(NEXT) | instid1(VALU_DEP_1)
	v_add3_u32 v3, v2, v3, 0x407ffff
	v_and_b32_e32 v7, 0xff00000, v3
	v_lshrrev_b32_e32 v3, 20, v3
	s_delay_alu instid0(VALU_DEP_2) | instskip(NEXT) | instid1(VALU_DEP_2)
	v_cmp_ne_u32_e32 vcc_lo, 0x7f00000, v7
	v_cndmask_b32_e32 v3, 0x7e, v3, vcc_lo
; %bb.639:
	s_and_not1_saveexec_b32 s3, s3
; %bb.640:
	v_add_f32_e64 v3, 0x46800000, |v2|
; %bb.641:
	s_or_b32 exec_lo, exec_lo, s3
                                        ; implicit-def: $vgpr7
.LBB11_642:
	s_and_not1_saveexec_b32 s2, s2
; %bb.643:
	v_mov_b32_e32 v3, 0x7f
	v_cmp_lt_u32_e32 vcc_lo, 0x7f800000, v7
	s_delay_alu instid0(VALU_DEP_2)
	v_cndmask_b32_e32 v3, 0x7e, v3, vcc_lo
; %bb.644:
	s_or_b32 exec_lo, exec_lo, s2
	v_lshrrev_b32_e32 v2, 24, v2
	s_delay_alu instid0(VALU_DEP_1)
	v_and_or_b32 v2, 0x80, v2, v3
	global_store_b8 v[4:5], v2, off
.LBB11_645:
	s_mov_b32 s2, 0
.LBB11_646:
	s_delay_alu instid0(SALU_CYCLE_1)
	s_and_not1_b32 vcc_lo, exec_lo, s2
	s_cbranch_vccnz .LBB11_656
; %bb.647:
	v_cvt_f32_f64_e32 v2, v[0:1]
	s_mov_b32 s2, exec_lo
                                        ; implicit-def: $vgpr3
	s_delay_alu instid0(VALU_DEP_1) | instskip(NEXT) | instid1(VALU_DEP_1)
	v_and_b32_e32 v7, 0x7fffffff, v2
	v_cmpx_gt_u32_e32 0x47800000, v7
	s_xor_b32 s2, exec_lo, s2
	s_cbranch_execz .LBB11_653
; %bb.648:
	s_mov_b32 s3, exec_lo
                                        ; implicit-def: $vgpr3
	v_cmpx_lt_u32_e32 0x387fffff, v7
	s_xor_b32 s3, exec_lo, s3
; %bb.649:
	v_bfe_u32 v3, v2, 21, 1
	s_delay_alu instid0(VALU_DEP_1) | instskip(NEXT) | instid1(VALU_DEP_1)
	v_add3_u32 v3, v2, v3, 0x80fffff
	v_lshrrev_b32_e32 v3, 21, v3
; %bb.650:
	s_and_not1_saveexec_b32 s3, s3
; %bb.651:
	v_add_f32_e64 v3, 0x43000000, |v2|
; %bb.652:
	s_or_b32 exec_lo, exec_lo, s3
                                        ; implicit-def: $vgpr7
.LBB11_653:
	s_and_not1_saveexec_b32 s2, s2
; %bb.654:
	v_mov_b32_e32 v3, 0x7f
	v_cmp_lt_u32_e32 vcc_lo, 0x7f800000, v7
	s_delay_alu instid0(VALU_DEP_2)
	v_cndmask_b32_e32 v3, 0x7c, v3, vcc_lo
; %bb.655:
	s_or_b32 exec_lo, exec_lo, s2
	v_lshrrev_b32_e32 v2, 24, v2
	s_delay_alu instid0(VALU_DEP_1)
	v_and_or_b32 v2, 0x80, v2, v3
	global_store_b8 v[4:5], v2, off
.LBB11_656:
	s_mov_b32 s2, 0
.LBB11_657:
	s_delay_alu instid0(SALU_CYCLE_1)
	s_and_not1_b32 vcc_lo, exec_lo, s2
	s_mov_b32 s2, 0
	s_cbranch_vccnz .LBB11_664
; %bb.658:
	v_cmp_lt_i16_e32 vcc_lo, 14, v6
	s_mov_b32 s2, -1
	s_cbranch_vccz .LBB11_662
; %bb.659:
	v_cmp_eq_u16_e32 vcc_lo, 15, v6
	s_mov_b32 s0, -1
	s_cbranch_vccz .LBB11_661
; %bb.660:
	v_cvt_f32_f64_e32 v2, v[0:1]
	s_mov_b32 s0, 0
	s_delay_alu instid0(VALU_DEP_1) | instskip(SKIP_1) | instid1(VALU_DEP_2)
	v_bfe_u32 v3, v2, 16, 1
	v_cmp_o_f32_e32 vcc_lo, v2, v2
	v_add3_u32 v3, v2, v3, 0x7fff
	s_delay_alu instid0(VALU_DEP_1) | instskip(NEXT) | instid1(VALU_DEP_1)
	v_lshrrev_b32_e32 v3, 16, v3
	v_cndmask_b32_e32 v2, 0x7fc0, v3, vcc_lo
	global_store_b16 v[4:5], v2, off
.LBB11_661:
	s_mov_b32 s2, 0
.LBB11_662:
	s_delay_alu instid0(SALU_CYCLE_1)
	s_and_b32 vcc_lo, exec_lo, s2
	s_mov_b32 s2, 0
	s_cbranch_vccz .LBB11_664
; %bb.663:
	v_cmp_ne_u16_e64 s0, 11, v6
	s_mov_b32 s2, -1
.LBB11_664:
	s_delay_alu instid0(VALU_DEP_1)
	s_and_b32 vcc_lo, exec_lo, s0
	s_cbranch_vccnz .LBB11_1114
.LBB11_665:
	s_mov_b32 s0, 0
	s_branch .LBB11_667
.LBB11_666:
	s_mov_b32 s0, 0
	s_mov_b32 s2, 0
                                        ; implicit-def: $vgpr6
                                        ; implicit-def: $vgpr4_vgpr5
.LBB11_667:
	s_and_not1_b32 s3, s16, exec_lo
	s_and_b32 s1, s1, exec_lo
	s_and_b32 s0, s0, exec_lo
	;; [unrolled: 1-line block ×3, first 2 shown]
	s_or_b32 s16, s3, s1
.LBB11_668:
	s_or_b32 exec_lo, exec_lo, s17
	s_and_saveexec_b32 s1, s16
	s_cbranch_execz .LBB11_671
; %bb.669:
	; divergent unreachable
	s_or_b32 exec_lo, exec_lo, s1
	s_and_saveexec_b32 s1, s37
	s_delay_alu instid0(SALU_CYCLE_1)
	s_xor_b32 s1, exec_lo, s1
	s_cbranch_execnz .LBB11_672
.LBB11_670:
	s_or_b32 exec_lo, exec_lo, s1
	s_and_saveexec_b32 s1, s0
	s_cbranch_execnz .LBB11_673
	s_branch .LBB11_710
.LBB11_671:
	s_or_b32 exec_lo, exec_lo, s1
	s_and_saveexec_b32 s1, s37
	s_delay_alu instid0(SALU_CYCLE_1)
	s_xor_b32 s1, exec_lo, s1
	s_cbranch_execz .LBB11_670
.LBB11_672:
	v_cmp_neq_f64_e32 vcc_lo, 0, v[0:1]
	v_cndmask_b32_e64 v2, 0, 1, vcc_lo
	global_store_b8 v[4:5], v2, off
	s_or_b32 exec_lo, exec_lo, s1
	s_and_saveexec_b32 s1, s0
	s_cbranch_execz .LBB11_710
.LBB11_673:
	v_cmp_gt_i16_e32 vcc_lo, 5, v6
	s_mov_b32 s0, -1
	s_cbranch_vccnz .LBB11_694
; %bb.674:
	v_cmp_gt_i16_e32 vcc_lo, 8, v6
	s_cbranch_vccnz .LBB11_684
; %bb.675:
	v_cmp_gt_i16_e32 vcc_lo, 9, v6
	s_cbranch_vccnz .LBB11_681
; %bb.676:
	v_cmp_lt_i16_e32 vcc_lo, 9, v6
	s_cbranch_vccz .LBB11_678
; %bb.677:
	v_mov_b32_e32 v2, 0
	s_mov_b32 s0, 0
	s_delay_alu instid0(VALU_DEP_1)
	v_mov_b32_e32 v3, v2
	global_store_b128 v[4:5], v[0:3], off
.LBB11_678:
	s_and_not1_b32 vcc_lo, exec_lo, s0
	s_cbranch_vccnz .LBB11_680
; %bb.679:
	v_cvt_f32_f64_e32 v2, v[0:1]
	v_mov_b32_e32 v3, 0
	global_store_b64 v[4:5], v[2:3], off
.LBB11_680:
	s_mov_b32 s0, 0
.LBB11_681:
	s_delay_alu instid0(SALU_CYCLE_1)
	s_and_not1_b32 vcc_lo, exec_lo, s0
	s_cbranch_vccnz .LBB11_683
; %bb.682:
	v_cvt_f32_f64_e32 v2, v[0:1]
	s_delay_alu instid0(VALU_DEP_1) | instskip(NEXT) | instid1(VALU_DEP_1)
	v_cvt_f16_f32_e32 v2, v2
	v_and_b32_e32 v2, 0xffff, v2
	global_store_b32 v[4:5], v2, off
.LBB11_683:
	s_mov_b32 s0, 0
.LBB11_684:
	s_delay_alu instid0(SALU_CYCLE_1)
	s_and_not1_b32 vcc_lo, exec_lo, s0
	s_cbranch_vccnz .LBB11_693
; %bb.685:
	v_cmp_gt_i16_e32 vcc_lo, 6, v6
	s_mov_b32 s0, -1
	s_cbranch_vccnz .LBB11_691
; %bb.686:
	v_cmp_lt_i16_e32 vcc_lo, 6, v6
	s_cbranch_vccz .LBB11_688
; %bb.687:
	s_mov_b32 s0, 0
	global_store_b64 v[4:5], v[0:1], off
.LBB11_688:
	s_and_not1_b32 vcc_lo, exec_lo, s0
	s_cbranch_vccnz .LBB11_690
; %bb.689:
	v_cvt_f32_f64_e32 v2, v[0:1]
	global_store_b32 v[4:5], v2, off
.LBB11_690:
	s_mov_b32 s0, 0
.LBB11_691:
	s_delay_alu instid0(SALU_CYCLE_1)
	s_and_not1_b32 vcc_lo, exec_lo, s0
	s_cbranch_vccnz .LBB11_693
; %bb.692:
	v_cvt_f32_f64_e32 v2, v[0:1]
	s_delay_alu instid0(VALU_DEP_1)
	v_cvt_f16_f32_e32 v2, v2
	global_store_b16 v[4:5], v2, off
.LBB11_693:
	s_mov_b32 s0, 0
.LBB11_694:
	s_delay_alu instid0(SALU_CYCLE_1)
	s_and_not1_b32 vcc_lo, exec_lo, s0
	s_cbranch_vccnz .LBB11_710
; %bb.695:
	v_cmp_gt_i16_e32 vcc_lo, 2, v6
	s_mov_b32 s0, -1
	s_cbranch_vccnz .LBB11_705
; %bb.696:
	v_cmp_gt_i16_e32 vcc_lo, 3, v6
	s_cbranch_vccnz .LBB11_702
; %bb.697:
	v_cmp_lt_i16_e32 vcc_lo, 3, v6
	s_cbranch_vccz .LBB11_699
; %bb.698:
	v_trunc_f64_e32 v[2:3], v[0:1]
	s_mov_b32 s0, 0
	s_delay_alu instid0(VALU_DEP_1) | instskip(NEXT) | instid1(VALU_DEP_1)
	v_ldexp_f64 v[7:8], v[2:3], 0xffffffe0
	v_floor_f64_e32 v[7:8], v[7:8]
	s_delay_alu instid0(VALU_DEP_1) | instskip(SKIP_1) | instid1(VALU_DEP_2)
	v_fma_f64 v[2:3], 0xc1f00000, v[7:8], v[2:3]
	v_cvt_i32_f64_e32 v8, v[7:8]
	v_cvt_u32_f64_e32 v7, v[2:3]
	global_store_b64 v[4:5], v[7:8], off
.LBB11_699:
	s_and_not1_b32 vcc_lo, exec_lo, s0
	s_cbranch_vccnz .LBB11_701
; %bb.700:
	v_cvt_i32_f64_e32 v2, v[0:1]
	global_store_b32 v[4:5], v2, off
.LBB11_701:
	s_mov_b32 s0, 0
.LBB11_702:
	s_delay_alu instid0(SALU_CYCLE_1)
	s_and_not1_b32 vcc_lo, exec_lo, s0
	s_cbranch_vccnz .LBB11_704
; %bb.703:
	v_cvt_i32_f64_e32 v2, v[0:1]
	global_store_b16 v[4:5], v2, off
.LBB11_704:
	s_mov_b32 s0, 0
.LBB11_705:
	s_delay_alu instid0(SALU_CYCLE_1)
	s_and_not1_b32 vcc_lo, exec_lo, s0
	s_cbranch_vccnz .LBB11_710
; %bb.706:
	v_cmp_lt_i16_e32 vcc_lo, 0, v6
	s_mov_b32 s0, -1
	s_cbranch_vccz .LBB11_708
; %bb.707:
	v_cvt_i32_f64_e32 v2, v[0:1]
	s_mov_b32 s0, 0
	global_store_b8 v[4:5], v2, off
.LBB11_708:
	s_and_not1_b32 vcc_lo, exec_lo, s0
	s_cbranch_vccnz .LBB11_710
; %bb.709:
	v_trunc_f64_e32 v[0:1], v[0:1]
	s_delay_alu instid0(VALU_DEP_1) | instskip(NEXT) | instid1(VALU_DEP_1)
	v_ldexp_f64 v[2:3], v[0:1], 0xffffffe0
	v_floor_f64_e32 v[2:3], v[2:3]
	s_delay_alu instid0(VALU_DEP_1) | instskip(NEXT) | instid1(VALU_DEP_1)
	v_fma_f64 v[0:1], 0xc1f00000, v[2:3], v[0:1]
	v_cvt_u32_f64_e32 v0, v[0:1]
	global_store_b8 v[4:5], v0, off
	s_endpgm
.LBB11_710:
	s_endpgm
.LBB11_711:
	s_mov_b32 s4, -1
                                        ; implicit-def: $vgpr29
                                        ; implicit-def: $vgpr2
	s_branch .LBB11_716
.LBB11_712:
	v_mov_b32_e32 v0, v30
	v_mov_b32_e32 v2, 0
.LBB11_713:
	s_and_b32 s6, s6, 3
	s_delay_alu instid0(SALU_CYCLE_1)
	s_cmp_eq_u32 s6, 0
	s_cbranch_scc1 .LBB11_716
; %bb.714:
	s_lshl_b32 s0, s5, 3
	s_mul_i32 s2, s5, 12
	s_add_u32 s0, s0, s14
	s_addc_u32 s1, s15, 0
	s_add_u32 s0, s0, 0xc4
	s_addc_u32 s1, s1, 0
	;; [unrolled: 2-line block ×3, first 2 shown]
	.p2align	6
.LBB11_715:                             ; =>This Inner Loop Header: Depth=1
	s_clause 0x1
	s_load_b64 s[8:9], s[2:3], 0x4
	s_load_b32 s5, s[2:3], 0xc
	s_load_b64 s[10:11], s[0:1], 0x0
	s_add_u32 s2, s2, 12
	s_addc_u32 s3, s3, 0
	s_add_u32 s0, s0, 8
	s_addc_u32 s1, s1, 0
	s_add_i32 s6, s6, -1
	s_delay_alu instid0(SALU_CYCLE_1) | instskip(SKIP_2) | instid1(VALU_DEP_1)
	s_cmp_lg_u32 s6, 0
	s_waitcnt lgkmcnt(0)
	v_mul_hi_u32 v1, s9, v0
	v_add_nc_u32_e32 v1, v0, v1
	s_delay_alu instid0(VALU_DEP_1) | instskip(NEXT) | instid1(VALU_DEP_1)
	v_lshrrev_b32_e32 v1, s5, v1
	v_mul_lo_u32 v3, v1, s8
	s_delay_alu instid0(VALU_DEP_1) | instskip(NEXT) | instid1(VALU_DEP_1)
	v_sub_nc_u32_e32 v0, v0, v3
	v_mad_u64_u32 v[3:4], null, v0, s10, v[29:30]
	s_delay_alu instid0(VALU_DEP_1) | instskip(SKIP_1) | instid1(VALU_DEP_2)
	v_mad_u64_u32 v[4:5], null, v0, s11, v[2:3]
	v_dual_mov_b32 v0, v1 :: v_dual_mov_b32 v29, v3
	v_mov_b32_e32 v2, v4
	s_cbranch_scc1 .LBB11_715
.LBB11_716:
	s_and_not1_b32 vcc_lo, exec_lo, s4
	s_cbranch_vccnz .LBB11_719
; %bb.717:
	s_waitcnt lgkmcnt(0)
	v_mul_hi_u32 v0, s25, v30
	s_and_not1_b32 vcc_lo, exec_lo, s40
	s_delay_alu instid0(VALU_DEP_1) | instskip(NEXT) | instid1(VALU_DEP_1)
	v_add_nc_u32_e32 v0, v30, v0
	v_lshrrev_b32_e32 v0, s26, v0
	s_delay_alu instid0(VALU_DEP_1) | instskip(NEXT) | instid1(VALU_DEP_1)
	v_mul_lo_u32 v1, v0, s24
	v_sub_nc_u32_e32 v1, v30, v1
	s_delay_alu instid0(VALU_DEP_1)
	v_mul_lo_u32 v29, v1, s20
	v_mul_lo_u32 v2, v1, s21
	s_cbranch_vccnz .LBB11_719
; %bb.718:
	v_mul_hi_u32 v1, s28, v0
	s_delay_alu instid0(VALU_DEP_1) | instskip(NEXT) | instid1(VALU_DEP_1)
	v_add_nc_u32_e32 v1, v0, v1
	v_lshrrev_b32_e32 v1, s29, v1
	s_delay_alu instid0(VALU_DEP_1) | instskip(NEXT) | instid1(VALU_DEP_1)
	v_mul_lo_u32 v1, v1, s27
	v_sub_nc_u32_e32 v5, v0, v1
	s_delay_alu instid0(VALU_DEP_1) | instskip(SKIP_1) | instid1(VALU_DEP_1)
	v_mad_u64_u32 v[0:1], null, v5, s22, v[29:30]
	v_mad_u64_u32 v[3:4], null, v5, s23, v[2:3]
	v_dual_mov_b32 v29, v0 :: v_dual_mov_b32 v2, v3
.LBB11_719:
	s_waitcnt lgkmcnt(0)
	v_dual_mov_b32 v0, s18 :: v_dual_mov_b32 v1, s19
	v_mov_b32_e32 v3, v28
	s_getpc_b64 s[0:1]
	s_add_u32 s0, s0, _ZN2at6native6invokeIZZZNS0_12_GLOBAL__N_130modified_bessel_k0_kernel_cudaERNS_18TensorIteratorBaseEENKUlvE_clEvENKUlvE_clEvEUldE_j15function_traitsIS7_EEENT1_11result_typeERKT_PrKPcPKT0_PKN3c1010ScalarTypeEi@rel32@lo+4
	s_addc_u32 s1, s1, _ZN2at6native6invokeIZZZNS0_12_GLOBAL__N_130modified_bessel_k0_kernel_cudaERNS_18TensorIteratorBaseEENKUlvE_clEvENKUlvE_clEvEUldE_j15function_traitsIS7_EEENT1_11result_typeERKT_PrKPcPKT0_PKN3c1010ScalarTypeEi@rel32@hi+12
	s_delay_alu instid0(SALU_CYCLE_1) | instskip(SKIP_2) | instid1(VALU_DEP_1)
	s_swappc_b64 s[30:31], s[0:1]
	v_and_b32_e32 v6, 0xff, v31
	v_add_co_u32 v4, s0, s16, v29
	v_add_co_ci_u32_e64 v5, null, s17, 0, s0
	s_delay_alu instid0(VALU_DEP_3)
	v_cmp_gt_i16_e32 vcc_lo, 11, v6
	s_mov_b32 s1, 0
	s_mov_b32 s2, -1
	s_mov_b32 s0, s44
	s_cbranch_vccnz .LBB11_726
; %bb.720:
	v_cmp_lt_i16_e32 vcc_lo, 25, v6
	s_cbranch_vccz .LBB11_766
; %bb.721:
	v_cmp_lt_i16_e32 vcc_lo, 28, v6
	s_cbranch_vccz .LBB11_767
; %bb.722:
	v_cmp_lt_i16_e32 vcc_lo, 43, v6
	s_cbranch_vccz .LBB11_774
; %bb.723:
	v_cmp_lt_i16_e32 vcc_lo, 45, v6
	s_cbranch_vccz .LBB11_785
; %bb.724:
	v_cmp_eq_u16_e32 vcc_lo, 46, v6
	s_mov_b32 s2, 0
	s_mov_b32 s0, -1
	s_cbranch_vccz .LBB11_786
; %bb.725:
	v_cvt_f32_f64_e32 v2, v[0:1]
	s_mov_b32 s1, -1
	s_mov_b32 s0, 0
	s_delay_alu instid0(VALU_DEP_1) | instskip(SKIP_1) | instid1(VALU_DEP_2)
	v_bfe_u32 v3, v2, 16, 1
	v_cmp_o_f32_e32 vcc_lo, v2, v2
	v_add3_u32 v3, v2, v3, 0x7fff
	s_delay_alu instid0(VALU_DEP_1) | instskip(NEXT) | instid1(VALU_DEP_1)
	v_lshrrev_b32_e32 v3, 16, v3
	v_cndmask_b32_e32 v2, 0x7fc0, v3, vcc_lo
	global_store_b32 v[4:5], v2, off
	s_branch .LBB11_786
.LBB11_726:
	s_and_b32 vcc_lo, exec_lo, s2
	s_cbranch_vccz .LBB11_855
; %bb.727:
	v_cmp_gt_i16_e32 vcc_lo, 5, v6
	s_mov_b32 s1, -1
	s_cbranch_vccnz .LBB11_748
; %bb.728:
	v_cmp_gt_i16_e32 vcc_lo, 8, v6
	s_cbranch_vccnz .LBB11_738
; %bb.729:
	v_cmp_gt_i16_e32 vcc_lo, 9, v6
	s_cbranch_vccnz .LBB11_735
; %bb.730:
	v_cmp_lt_i16_e32 vcc_lo, 9, v6
	s_cbranch_vccz .LBB11_732
; %bb.731:
	v_mov_b32_e32 v2, 0
	s_mov_b32 s1, 0
	s_delay_alu instid0(VALU_DEP_1)
	v_mov_b32_e32 v3, v2
	global_store_b128 v[4:5], v[0:3], off
.LBB11_732:
	s_and_not1_b32 vcc_lo, exec_lo, s1
	s_cbranch_vccnz .LBB11_734
; %bb.733:
	v_cvt_f32_f64_e32 v2, v[0:1]
	v_mov_b32_e32 v3, 0
	global_store_b64 v[4:5], v[2:3], off
.LBB11_734:
	s_mov_b32 s1, 0
.LBB11_735:
	s_delay_alu instid0(SALU_CYCLE_1)
	s_and_not1_b32 vcc_lo, exec_lo, s1
	s_cbranch_vccnz .LBB11_737
; %bb.736:
	v_cvt_f32_f64_e32 v2, v[0:1]
	s_delay_alu instid0(VALU_DEP_1) | instskip(NEXT) | instid1(VALU_DEP_1)
	v_cvt_f16_f32_e32 v2, v2
	v_and_b32_e32 v2, 0xffff, v2
	global_store_b32 v[4:5], v2, off
.LBB11_737:
	s_mov_b32 s1, 0
.LBB11_738:
	s_delay_alu instid0(SALU_CYCLE_1)
	s_and_not1_b32 vcc_lo, exec_lo, s1
	s_cbranch_vccnz .LBB11_747
; %bb.739:
	v_cmp_gt_i16_e32 vcc_lo, 6, v6
	s_mov_b32 s1, -1
	s_cbranch_vccnz .LBB11_745
; %bb.740:
	v_cmp_lt_i16_e32 vcc_lo, 6, v6
	s_cbranch_vccz .LBB11_742
; %bb.741:
	s_mov_b32 s1, 0
	global_store_b64 v[4:5], v[0:1], off
.LBB11_742:
	s_and_not1_b32 vcc_lo, exec_lo, s1
	s_cbranch_vccnz .LBB11_744
; %bb.743:
	v_cvt_f32_f64_e32 v2, v[0:1]
	global_store_b32 v[4:5], v2, off
.LBB11_744:
	s_mov_b32 s1, 0
.LBB11_745:
	s_delay_alu instid0(SALU_CYCLE_1)
	s_and_not1_b32 vcc_lo, exec_lo, s1
	s_cbranch_vccnz .LBB11_747
; %bb.746:
	v_cvt_f32_f64_e32 v2, v[0:1]
	s_delay_alu instid0(VALU_DEP_1)
	v_cvt_f16_f32_e32 v2, v2
	global_store_b16 v[4:5], v2, off
.LBB11_747:
	s_mov_b32 s1, 0
.LBB11_748:
	s_delay_alu instid0(SALU_CYCLE_1)
	s_and_not1_b32 vcc_lo, exec_lo, s1
	s_cbranch_vccnz .LBB11_764
; %bb.749:
	v_cmp_gt_i16_e32 vcc_lo, 2, v6
	s_mov_b32 s1, -1
	s_cbranch_vccnz .LBB11_759
; %bb.750:
	v_cmp_gt_i16_e32 vcc_lo, 3, v6
	s_cbranch_vccnz .LBB11_756
; %bb.751:
	v_cmp_lt_i16_e32 vcc_lo, 3, v6
	s_cbranch_vccz .LBB11_753
; %bb.752:
	v_trunc_f64_e32 v[2:3], v[0:1]
	s_mov_b32 s1, 0
	s_delay_alu instid0(VALU_DEP_1) | instskip(NEXT) | instid1(VALU_DEP_1)
	v_ldexp_f64 v[7:8], v[2:3], 0xffffffe0
	v_floor_f64_e32 v[7:8], v[7:8]
	s_delay_alu instid0(VALU_DEP_1) | instskip(SKIP_1) | instid1(VALU_DEP_2)
	v_fma_f64 v[2:3], 0xc1f00000, v[7:8], v[2:3]
	v_cvt_i32_f64_e32 v8, v[7:8]
	v_cvt_u32_f64_e32 v7, v[2:3]
	global_store_b64 v[4:5], v[7:8], off
.LBB11_753:
	s_and_not1_b32 vcc_lo, exec_lo, s1
	s_cbranch_vccnz .LBB11_755
; %bb.754:
	v_cvt_i32_f64_e32 v2, v[0:1]
	global_store_b32 v[4:5], v2, off
.LBB11_755:
	s_mov_b32 s1, 0
.LBB11_756:
	s_delay_alu instid0(SALU_CYCLE_1)
	s_and_not1_b32 vcc_lo, exec_lo, s1
	s_cbranch_vccnz .LBB11_758
; %bb.757:
	v_cvt_i32_f64_e32 v2, v[0:1]
	global_store_b16 v[4:5], v2, off
.LBB11_758:
	s_mov_b32 s1, 0
.LBB11_759:
	s_delay_alu instid0(SALU_CYCLE_1)
	s_and_not1_b32 vcc_lo, exec_lo, s1
	s_cbranch_vccnz .LBB11_764
; %bb.760:
	v_cmp_lt_i16_e32 vcc_lo, 0, v6
	s_mov_b32 s1, -1
	s_cbranch_vccz .LBB11_762
; %bb.761:
	v_cvt_i32_f64_e32 v2, v[0:1]
	s_mov_b32 s1, 0
	global_store_b8 v[4:5], v2, off
.LBB11_762:
	s_and_not1_b32 vcc_lo, exec_lo, s1
	s_cbranch_vccnz .LBB11_764
; %bb.763:
	v_trunc_f64_e32 v[0:1], v[0:1]
	s_delay_alu instid0(VALU_DEP_1) | instskip(NEXT) | instid1(VALU_DEP_1)
	v_ldexp_f64 v[2:3], v[0:1], 0xffffffe0
	v_floor_f64_e32 v[2:3], v[2:3]
	s_delay_alu instid0(VALU_DEP_1) | instskip(NEXT) | instid1(VALU_DEP_1)
	v_fma_f64 v[0:1], 0xc1f00000, v[2:3], v[0:1]
	v_cvt_u32_f64_e32 v0, v[0:1]
	global_store_b8 v[4:5], v0, off
.LBB11_764:
	s_branch .LBB11_856
.LBB11_765:
	s_mov_b32 s1, 0
                                        ; implicit-def: $vgpr30
	s_branch .LBB11_857
.LBB11_766:
	s_mov_b32 s0, s44
	s_branch .LBB11_813
.LBB11_767:
	s_mov_b32 s0, s44
	s_branch .LBB11_796
.LBB11_768:
	s_or_saveexec_b32 s4, s4
                                        ; implicit-def: $sgpr5
	s_delay_alu instid0(SALU_CYCLE_1)
	s_xor_b32 exec_lo, exec_lo, s4
	s_cbranch_execz .LBB11_264
.LBB11_769:
	v_add_f32_e64 v5, 0x46000000, |v4|
	s_and_not1_b32 s3, s3, exec_lo
	s_mov_b32 s5, 0
	s_delay_alu instid0(VALU_DEP_1) | instskip(NEXT) | instid1(VALU_DEP_1)
	v_and_b32_e32 v5, 0xff, v5
	v_cmp_ne_u32_e32 vcc_lo, 0, v5
	s_and_b32 s6, vcc_lo, exec_lo
	s_delay_alu instid0(SALU_CYCLE_1)
	s_or_b32 s3, s3, s6
	s_or_b32 exec_lo, exec_lo, s4
	v_mov_b32_e32 v7, s5
	s_and_saveexec_b32 s4, s3
	s_cbranch_execnz .LBB11_265
	s_branch .LBB11_266
.LBB11_770:
	s_cbranch_execnz .LBB11_779
; %bb.771:
	s_or_b32 s1, s16, exec_lo
	s_cbranch_execz .LBB11_312
	s_branch .LBB11_313
.LBB11_772:
	s_or_saveexec_b32 s3, s3
                                        ; implicit-def: $sgpr4
	s_delay_alu instid0(SALU_CYCLE_1)
	s_xor_b32 exec_lo, exec_lo, s3
	s_cbranch_execz .LBB11_43
.LBB11_773:
	v_add_f32_e64 v3, 0x46000000, |v2|
	s_and_not1_b32 s2, s2, exec_lo
	s_mov_b32 s4, 0
	s_delay_alu instid0(VALU_DEP_1) | instskip(NEXT) | instid1(VALU_DEP_1)
	v_and_b32_e32 v3, 0xff, v3
	v_cmp_ne_u32_e32 vcc_lo, 0, v3
	s_and_b32 s5, vcc_lo, exec_lo
	s_delay_alu instid0(SALU_CYCLE_1)
	s_or_b32 s2, s2, s5
	s_or_b32 exec_lo, exec_lo, s3
	v_mov_b32_e32 v7, s4
	s_and_saveexec_b32 s3, s2
	s_cbranch_execnz .LBB11_44
	s_branch .LBB11_45
.LBB11_774:
	s_mov_b32 s0, s44
	s_branch .LBB11_792
.LBB11_775:
	s_or_saveexec_b32 s3, s3
                                        ; implicit-def: $sgpr4
	s_delay_alu instid0(SALU_CYCLE_1)
	s_xor_b32 exec_lo, exec_lo, s3
	s_cbranch_execz .LBB11_277
.LBB11_776:
	v_add_f32_e64 v5, 0x42800000, |v4|
	s_and_not1_b32 s2, s2, exec_lo
	s_mov_b32 s4, 0
	s_delay_alu instid0(VALU_DEP_1) | instskip(NEXT) | instid1(VALU_DEP_1)
	v_and_b32_e32 v5, 0xff, v5
	v_cmp_ne_u32_e32 vcc_lo, 0, v5
	s_and_b32 s5, vcc_lo, exec_lo
	s_delay_alu instid0(SALU_CYCLE_1)
	s_or_b32 s2, s2, s5
	s_or_b32 exec_lo, exec_lo, s3
	v_mov_b32_e32 v7, s4
	s_and_saveexec_b32 s3, s2
	s_cbranch_execnz .LBB11_278
	s_branch .LBB11_279
.LBB11_777:
	s_or_saveexec_b32 s5, s5
                                        ; implicit-def: $sgpr6
	s_delay_alu instid0(SALU_CYCLE_1)
	s_xor_b32 exec_lo, exec_lo, s5
	s_cbranch_execz .LBB11_382
.LBB11_778:
	v_add_f32_e64 v5, 0x46000000, |v4|
	s_and_not1_b32 s4, s4, exec_lo
	s_mov_b32 s6, 0
	s_delay_alu instid0(VALU_DEP_1) | instskip(NEXT) | instid1(VALU_DEP_1)
	v_and_b32_e32 v5, 0xff, v5
	v_cmp_ne_u32_e32 vcc_lo, 0, v5
	s_and_b32 s7, vcc_lo, exec_lo
	s_delay_alu instid0(SALU_CYCLE_1)
	s_or_b32 s4, s4, s7
	s_or_b32 exec_lo, exec_lo, s5
	v_mov_b32_e32 v7, s6
	s_and_saveexec_b32 s5, s4
	s_cbranch_execnz .LBB11_383
	s_branch .LBB11_384
.LBB11_779:
	s_trap 2
	s_sendmsg_rtn_b32 s0, sendmsg(MSG_RTN_GET_DOORBELL)
	s_mov_b32 ttmp2, m0
	s_waitcnt lgkmcnt(0)
	s_and_b32 s0, s0, 0x3ff
	s_delay_alu instid0(SALU_CYCLE_1) | instskip(NEXT) | instid1(SALU_CYCLE_1)
	s_bitset1_b32 s0, 10
	s_mov_b32 m0, s0
	s_sendmsg sendmsg(MSG_INTERRUPT)
	s_mov_b32 m0, ttmp2
.LBB11_780:                             ; =>This Inner Loop Header: Depth=1
	s_sethalt 5
	s_branch .LBB11_780
.LBB11_781:
	s_cbranch_execnz .LBB11_929
; %bb.782:
	s_or_b32 s1, s1, exec_lo
	s_cbranch_execz .LBB11_430
	s_branch .LBB11_431
.LBB11_783:
	s_or_saveexec_b32 s3, s3
                                        ; implicit-def: $sgpr4
	s_delay_alu instid0(SALU_CYCLE_1)
	s_xor_b32 exec_lo, exec_lo, s3
	s_cbranch_execz .LBB11_56
.LBB11_784:
	v_add_f32_e64 v3, 0x42800000, |v2|
	s_and_not1_b32 s2, s2, exec_lo
	s_mov_b32 s4, 0
	s_delay_alu instid0(VALU_DEP_1) | instskip(NEXT) | instid1(VALU_DEP_1)
	v_and_b32_e32 v3, 0xff, v3
	v_cmp_ne_u32_e32 vcc_lo, 0, v3
	s_and_b32 s5, vcc_lo, exec_lo
	s_delay_alu instid0(SALU_CYCLE_1)
	s_or_b32 s2, s2, s5
	s_or_b32 exec_lo, exec_lo, s3
	v_mov_b32_e32 v7, s4
	s_and_saveexec_b32 s3, s2
	s_cbranch_execnz .LBB11_57
	s_branch .LBB11_58
.LBB11_785:
	s_mov_b32 s0, s44
.LBB11_786:
	s_and_b32 vcc_lo, exec_lo, s2
	s_cbranch_vccz .LBB11_791
; %bb.787:
	v_cmp_eq_u16_e32 vcc_lo, 44, v6
	s_mov_b32 s0, -1
	s_cbranch_vccz .LBB11_791
; %bb.788:
	v_cvt_f32_f64_e32 v2, v[0:1]
	v_mov_b32_e32 v3, 0xff
	s_mov_b32 s1, exec_lo
	s_delay_alu instid0(VALU_DEP_2) | instskip(NEXT) | instid1(VALU_DEP_1)
	v_bfe_u32 v7, v2, 23, 8
	v_cmpx_ne_u32_e32 0xff, v7
; %bb.789:
	v_and_b32_e32 v3, 0x400000, v2
	v_and_or_b32 v7, 0x3fffff, v2, v7
	v_lshrrev_b32_e32 v2, 23, v2
	s_delay_alu instid0(VALU_DEP_3) | instskip(NEXT) | instid1(VALU_DEP_3)
	v_cmp_ne_u32_e32 vcc_lo, 0, v3
	v_cmp_ne_u32_e64 s0, 0, v7
	s_delay_alu instid0(VALU_DEP_1) | instskip(NEXT) | instid1(SALU_CYCLE_1)
	s_and_b32 s0, vcc_lo, s0
	v_cndmask_b32_e64 v3, 0, 1, s0
	s_delay_alu instid0(VALU_DEP_1)
	v_add_nc_u32_e32 v3, v2, v3
; %bb.790:
	s_or_b32 exec_lo, exec_lo, s1
	s_mov_b32 s1, -1
	s_mov_b32 s0, 0
	global_store_b8 v[4:5], v3, off
.LBB11_791:
	s_mov_b32 s2, 0
.LBB11_792:
	s_delay_alu instid0(SALU_CYCLE_1)
	s_and_b32 vcc_lo, exec_lo, s2
	s_cbranch_vccz .LBB11_795
; %bb.793:
	v_cmp_eq_u16_e32 vcc_lo, 29, v6
	s_mov_b32 s0, -1
	s_cbranch_vccz .LBB11_795
; %bb.794:
	v_trunc_f64_e32 v[2:3], v[0:1]
	s_mov_b32 s1, -1
	s_mov_b32 s0, 0
	s_mov_b32 s2, 0
	s_delay_alu instid0(VALU_DEP_1) | instskip(NEXT) | instid1(VALU_DEP_1)
	v_ldexp_f64 v[7:8], v[2:3], 0xffffffe0
	v_floor_f64_e32 v[7:8], v[7:8]
	s_delay_alu instid0(VALU_DEP_1) | instskip(SKIP_1) | instid1(VALU_DEP_2)
	v_fma_f64 v[2:3], 0xc1f00000, v[7:8], v[2:3]
	v_cvt_u32_f64_e32 v8, v[7:8]
	v_cvt_u32_f64_e32 v7, v[2:3]
	global_store_b64 v[4:5], v[7:8], off
	s_branch .LBB11_796
.LBB11_795:
	s_mov_b32 s2, 0
.LBB11_796:
	s_delay_alu instid0(SALU_CYCLE_1)
	s_and_b32 vcc_lo, exec_lo, s2
	s_cbranch_vccz .LBB11_812
; %bb.797:
	v_cmp_gt_i16_e32 vcc_lo, 27, v6
	s_mov_b32 s1, -1
	s_cbranch_vccnz .LBB11_803
; %bb.798:
	v_cmp_lt_i16_e32 vcc_lo, 27, v6
	s_cbranch_vccz .LBB11_800
; %bb.799:
	v_cvt_u32_f64_e32 v2, v[0:1]
	s_mov_b32 s1, 0
	global_store_b32 v[4:5], v2, off
.LBB11_800:
	s_and_not1_b32 vcc_lo, exec_lo, s1
	s_cbranch_vccnz .LBB11_802
; %bb.801:
	v_cvt_u32_f64_e32 v2, v[0:1]
	global_store_b16 v[4:5], v2, off
.LBB11_802:
	s_mov_b32 s1, 0
.LBB11_803:
	s_delay_alu instid0(SALU_CYCLE_1)
	s_and_not1_b32 vcc_lo, exec_lo, s1
	s_cbranch_vccnz .LBB11_811
; %bb.804:
	v_cvt_f32_f64_e32 v2, v[0:1]
	v_mov_b32_e32 v7, 0x80
	s_mov_b32 s1, exec_lo
	s_delay_alu instid0(VALU_DEP_2) | instskip(NEXT) | instid1(VALU_DEP_1)
	v_and_b32_e32 v3, 0x7fffffff, v2
	v_cmpx_gt_u32_e32 0x43800000, v3
	s_cbranch_execz .LBB11_810
; %bb.805:
	v_cmp_lt_u32_e32 vcc_lo, 0x3bffffff, v3
	s_mov_b32 s2, 0
                                        ; implicit-def: $vgpr3
	s_and_saveexec_b32 s3, vcc_lo
	s_delay_alu instid0(SALU_CYCLE_1)
	s_xor_b32 s3, exec_lo, s3
	s_cbranch_execz .LBB11_922
; %bb.806:
	v_bfe_u32 v3, v2, 20, 1
	s_mov_b32 s2, exec_lo
	s_delay_alu instid0(VALU_DEP_1) | instskip(NEXT) | instid1(VALU_DEP_1)
	v_add3_u32 v3, v2, v3, 0x487ffff
	v_lshrrev_b32_e32 v3, 20, v3
	s_or_saveexec_b32 s3, s3
                                        ; implicit-def: $sgpr4
	s_delay_alu instid0(SALU_CYCLE_1)
	s_xor_b32 exec_lo, exec_lo, s3
	s_cbranch_execnz .LBB11_923
.LBB11_807:
	s_or_b32 exec_lo, exec_lo, s3
	v_mov_b32_e32 v7, s4
	s_and_saveexec_b32 s3, s2
.LBB11_808:
	v_lshrrev_b32_e32 v2, 24, v2
	s_delay_alu instid0(VALU_DEP_1)
	v_and_or_b32 v7, 0x80, v2, v3
.LBB11_809:
	s_or_b32 exec_lo, exec_lo, s3
.LBB11_810:
	s_delay_alu instid0(SALU_CYCLE_1)
	s_or_b32 exec_lo, exec_lo, s1
	global_store_b8 v[4:5], v7, off
.LBB11_811:
	s_mov_b32 s1, -1
.LBB11_812:
	s_mov_b32 s2, 0
.LBB11_813:
	s_delay_alu instid0(SALU_CYCLE_1)
	s_and_b32 vcc_lo, exec_lo, s2
	s_cbranch_vccz .LBB11_854
; %bb.814:
	v_cmp_lt_i16_e32 vcc_lo, 22, v6
	s_mov_b32 s2, -1
	s_cbranch_vccz .LBB11_846
; %bb.815:
	v_cmp_gt_i16_e32 vcc_lo, 24, v6
	s_mov_b32 s1, -1
	s_cbranch_vccnz .LBB11_835
; %bb.816:
	v_cmp_lt_i16_e32 vcc_lo, 24, v6
	s_cbranch_vccz .LBB11_824
; %bb.817:
	v_cvt_f32_f64_e32 v2, v[0:1]
	v_mov_b32_e32 v7, 0x80
	s_mov_b32 s1, exec_lo
	s_delay_alu instid0(VALU_DEP_2) | instskip(NEXT) | instid1(VALU_DEP_1)
	v_and_b32_e32 v3, 0x7fffffff, v2
	v_cmpx_gt_u32_e32 0x47800000, v3
	s_cbranch_execz .LBB11_823
; %bb.818:
	v_cmp_lt_u32_e32 vcc_lo, 0x37ffffff, v3
	s_mov_b32 s2, 0
                                        ; implicit-def: $vgpr3
	s_and_saveexec_b32 s3, vcc_lo
	s_delay_alu instid0(SALU_CYCLE_1)
	s_xor_b32 s3, exec_lo, s3
	s_cbranch_execz .LBB11_933
; %bb.819:
	v_bfe_u32 v3, v2, 21, 1
	s_mov_b32 s2, exec_lo
	s_delay_alu instid0(VALU_DEP_1) | instskip(NEXT) | instid1(VALU_DEP_1)
	v_add3_u32 v3, v2, v3, 0x88fffff
	v_lshrrev_b32_e32 v3, 21, v3
	s_or_saveexec_b32 s3, s3
                                        ; implicit-def: $sgpr4
	s_delay_alu instid0(SALU_CYCLE_1)
	s_xor_b32 exec_lo, exec_lo, s3
	s_cbranch_execnz .LBB11_934
.LBB11_820:
	s_or_b32 exec_lo, exec_lo, s3
	v_mov_b32_e32 v7, s4
	s_and_saveexec_b32 s3, s2
.LBB11_821:
	v_lshrrev_b32_e32 v2, 24, v2
	s_delay_alu instid0(VALU_DEP_1)
	v_and_or_b32 v7, 0x80, v2, v3
.LBB11_822:
	s_or_b32 exec_lo, exec_lo, s3
.LBB11_823:
	s_delay_alu instid0(SALU_CYCLE_1)
	s_or_b32 exec_lo, exec_lo, s1
	s_mov_b32 s1, 0
	global_store_b8 v[4:5], v7, off
.LBB11_824:
	s_and_b32 vcc_lo, exec_lo, s1
	s_cbranch_vccz .LBB11_834
; %bb.825:
	v_cvt_f32_f64_e32 v2, v[0:1]
	s_mov_b32 s1, exec_lo
                                        ; implicit-def: $vgpr3
	s_delay_alu instid0(VALU_DEP_1) | instskip(NEXT) | instid1(VALU_DEP_1)
	v_and_b32_e32 v7, 0x7fffffff, v2
	v_cmpx_gt_u32_e32 0x43f00000, v7
	s_xor_b32 s1, exec_lo, s1
	s_cbranch_execz .LBB11_831
; %bb.826:
	s_mov_b32 s2, exec_lo
                                        ; implicit-def: $vgpr3
	v_cmpx_lt_u32_e32 0x3c7fffff, v7
	s_xor_b32 s2, exec_lo, s2
; %bb.827:
	v_bfe_u32 v3, v2, 20, 1
	s_delay_alu instid0(VALU_DEP_1) | instskip(NEXT) | instid1(VALU_DEP_1)
	v_add3_u32 v3, v2, v3, 0x407ffff
	v_and_b32_e32 v7, 0xff00000, v3
	v_lshrrev_b32_e32 v3, 20, v3
	s_delay_alu instid0(VALU_DEP_2) | instskip(NEXT) | instid1(VALU_DEP_2)
	v_cmp_ne_u32_e32 vcc_lo, 0x7f00000, v7
	v_cndmask_b32_e32 v3, 0x7e, v3, vcc_lo
; %bb.828:
	s_and_not1_saveexec_b32 s2, s2
; %bb.829:
	v_add_f32_e64 v3, 0x46800000, |v2|
; %bb.830:
	s_or_b32 exec_lo, exec_lo, s2
                                        ; implicit-def: $vgpr7
.LBB11_831:
	s_and_not1_saveexec_b32 s1, s1
; %bb.832:
	v_mov_b32_e32 v3, 0x7f
	v_cmp_lt_u32_e32 vcc_lo, 0x7f800000, v7
	s_delay_alu instid0(VALU_DEP_2)
	v_cndmask_b32_e32 v3, 0x7e, v3, vcc_lo
; %bb.833:
	s_or_b32 exec_lo, exec_lo, s1
	v_lshrrev_b32_e32 v2, 24, v2
	s_delay_alu instid0(VALU_DEP_1)
	v_and_or_b32 v2, 0x80, v2, v3
	global_store_b8 v[4:5], v2, off
.LBB11_834:
	s_mov_b32 s1, 0
.LBB11_835:
	s_delay_alu instid0(SALU_CYCLE_1)
	s_and_not1_b32 vcc_lo, exec_lo, s1
	s_cbranch_vccnz .LBB11_845
; %bb.836:
	v_cvt_f32_f64_e32 v2, v[0:1]
	s_mov_b32 s1, exec_lo
                                        ; implicit-def: $vgpr3
	s_delay_alu instid0(VALU_DEP_1) | instskip(NEXT) | instid1(VALU_DEP_1)
	v_and_b32_e32 v7, 0x7fffffff, v2
	v_cmpx_gt_u32_e32 0x47800000, v7
	s_xor_b32 s1, exec_lo, s1
	s_cbranch_execz .LBB11_842
; %bb.837:
	s_mov_b32 s2, exec_lo
                                        ; implicit-def: $vgpr3
	v_cmpx_lt_u32_e32 0x387fffff, v7
	s_xor_b32 s2, exec_lo, s2
; %bb.838:
	v_bfe_u32 v3, v2, 21, 1
	s_delay_alu instid0(VALU_DEP_1) | instskip(NEXT) | instid1(VALU_DEP_1)
	v_add3_u32 v3, v2, v3, 0x80fffff
	v_lshrrev_b32_e32 v3, 21, v3
; %bb.839:
	s_and_not1_saveexec_b32 s2, s2
; %bb.840:
	v_add_f32_e64 v3, 0x43000000, |v2|
; %bb.841:
	s_or_b32 exec_lo, exec_lo, s2
                                        ; implicit-def: $vgpr7
.LBB11_842:
	s_and_not1_saveexec_b32 s1, s1
; %bb.843:
	v_mov_b32_e32 v3, 0x7f
	v_cmp_lt_u32_e32 vcc_lo, 0x7f800000, v7
	s_delay_alu instid0(VALU_DEP_2)
	v_cndmask_b32_e32 v3, 0x7c, v3, vcc_lo
; %bb.844:
	s_or_b32 exec_lo, exec_lo, s1
	v_lshrrev_b32_e32 v2, 24, v2
	s_delay_alu instid0(VALU_DEP_1)
	v_and_or_b32 v2, 0x80, v2, v3
	global_store_b8 v[4:5], v2, off
.LBB11_845:
	s_mov_b32 s2, 0
	s_mov_b32 s1, -1
.LBB11_846:
	s_and_not1_b32 vcc_lo, exec_lo, s2
	s_cbranch_vccnz .LBB11_854
; %bb.847:
	v_cmp_lt_i16_e32 vcc_lo, 14, v6
	s_mov_b32 s2, -1
	s_cbranch_vccz .LBB11_851
; %bb.848:
	v_cmp_eq_u16_e32 vcc_lo, 15, v6
	s_mov_b32 s0, -1
	s_cbranch_vccz .LBB11_850
; %bb.849:
	v_cvt_f32_f64_e32 v2, v[0:1]
	s_mov_b32 s1, -1
	s_mov_b32 s0, 0
	s_delay_alu instid0(VALU_DEP_1) | instskip(SKIP_1) | instid1(VALU_DEP_2)
	v_bfe_u32 v3, v2, 16, 1
	v_cmp_o_f32_e32 vcc_lo, v2, v2
	v_add3_u32 v3, v2, v3, 0x7fff
	s_delay_alu instid0(VALU_DEP_1) | instskip(NEXT) | instid1(VALU_DEP_1)
	v_lshrrev_b32_e32 v3, 16, v3
	v_cndmask_b32_e32 v2, 0x7fc0, v3, vcc_lo
	global_store_b16 v[4:5], v2, off
.LBB11_850:
	s_mov_b32 s2, 0
.LBB11_851:
	s_delay_alu instid0(SALU_CYCLE_1)
	s_and_b32 vcc_lo, exec_lo, s2
	s_cbranch_vccz .LBB11_854
; %bb.852:
	v_cmp_eq_u16_e32 vcc_lo, 11, v6
	s_mov_b32 s0, -1
	s_cbranch_vccz .LBB11_854
; %bb.853:
	v_cmp_neq_f64_e32 vcc_lo, 0, v[0:1]
	s_mov_b32 s1, -1
	s_mov_b32 s0, 0
	v_cndmask_b32_e64 v2, 0, 1, vcc_lo
	global_store_b8 v[4:5], v2, off
.LBB11_854:
.LBB11_855:
	s_and_not1_b32 vcc_lo, exec_lo, s1
	s_cbranch_vccnz .LBB11_765
.LBB11_856:
	v_add_nc_u32_e32 v30, 0x80, v30
	s_mov_b32 s1, -1
.LBB11_857:
	s_and_not1_b32 s2, s44, exec_lo
	s_and_b32 s0, s0, exec_lo
	s_delay_alu instid0(SALU_CYCLE_1)
	s_or_b32 s46, s2, s0
	s_or_not1_b32 s2, s1, exec_lo
.LBB11_858:
	s_or_b32 exec_lo, exec_lo, s47
	s_mov_b32 s0, 0
	s_mov_b32 s1, 0
                                        ; implicit-def: $vgpr6
                                        ; implicit-def: $vgpr4_vgpr5
                                        ; implicit-def: $vgpr0_vgpr1
	s_and_saveexec_b32 s47, s2
	s_cbranch_execz .LBB11_1101
; %bb.859:
	s_mov_b32 s2, -1
	s_mov_b32 s49, s46
	s_mov_b32 s48, exec_lo
	v_cmpx_gt_i32_e64 s41, v30
	s_cbranch_execz .LBB11_1008
; %bb.860:
	s_and_not1_b32 vcc_lo, exec_lo, s38
	s_cbranch_vccnz .LBB11_865
; %bb.861:
	v_dual_mov_b32 v29, 0 :: v_dual_mov_b32 v2, 0
	s_and_not1_b32 vcc_lo, exec_lo, s43
	s_mov_b32 s4, 0
	s_cbranch_vccnz .LBB11_870
; %bb.862:
	v_mov_b32_e32 v29, 0
	s_add_i32 s6, s42, 1
	s_cmp_eq_u32 s36, 2
	s_mov_b32 s5, 0
	s_cbranch_scc1 .LBB11_866
; %bb.863:
	v_dual_mov_b32 v2, 0 :: v_dual_mov_b32 v29, 0
	v_mov_b32_e32 v0, v30
	s_and_b32 s5, s6, 28
	s_mov_b32 s7, 0
	s_mov_b64 s[0:1], s[34:35]
	s_mov_b64 s[2:3], s[14:15]
.LBB11_864:                             ; =>This Inner Loop Header: Depth=1
	s_clause 0x1
	s_load_b256 s[52:59], s[2:3], 0x4
	s_load_b128 s[8:11], s[2:3], 0x24
	s_load_b256 s[60:67], s[0:1], 0x0
	s_add_u32 s2, s2, 48
	s_addc_u32 s3, s3, 0
	s_add_i32 s7, s7, 4
	s_add_u32 s0, s0, 32
	s_addc_u32 s1, s1, 0
	s_cmp_eq_u32 s5, s7
	s_waitcnt lgkmcnt(0)
	v_mul_hi_u32 v1, s53, v0
	s_delay_alu instid0(VALU_DEP_1) | instskip(NEXT) | instid1(VALU_DEP_1)
	v_add_nc_u32_e32 v1, v0, v1
	v_lshrrev_b32_e32 v1, s54, v1
	s_delay_alu instid0(VALU_DEP_1) | instskip(SKIP_1) | instid1(VALU_DEP_2)
	v_mul_hi_u32 v3, s56, v1
	v_mul_lo_u32 v5, v1, s52
	v_add_nc_u32_e32 v3, v1, v3
	s_delay_alu instid0(VALU_DEP_2) | instskip(NEXT) | instid1(VALU_DEP_2)
	v_sub_nc_u32_e32 v0, v0, v5
	v_lshrrev_b32_e32 v3, s57, v3
	s_delay_alu instid0(VALU_DEP_2) | instskip(SKIP_1) | instid1(VALU_DEP_3)
	v_mul_lo_u32 v5, v0, s60
	v_mul_lo_u32 v7, v0, s61
	v_mul_hi_u32 v4, s59, v3
	s_delay_alu instid0(VALU_DEP_1) | instskip(NEXT) | instid1(VALU_DEP_1)
	v_add_nc_u32_e32 v4, v3, v4
	v_lshrrev_b32_e32 v4, s8, v4
	s_delay_alu instid0(VALU_DEP_1) | instskip(SKIP_1) | instid1(VALU_DEP_2)
	v_mul_hi_u32 v6, s10, v4
	v_mul_lo_u32 v8, v4, s58
	v_add_nc_u32_e32 v0, v4, v6
	v_mul_lo_u32 v6, v3, s55
	s_delay_alu instid0(VALU_DEP_3) | instskip(NEXT) | instid1(VALU_DEP_3)
	v_sub_nc_u32_e32 v3, v3, v8
	v_lshrrev_b32_e32 v0, s11, v0
	s_delay_alu instid0(VALU_DEP_2) | instskip(SKIP_2) | instid1(VALU_DEP_4)
	v_mul_lo_u32 v8, v3, s64
	v_mul_lo_u32 v3, v3, s65
	v_sub_nc_u32_e32 v1, v1, v6
	v_mul_lo_u32 v9, v0, s9
	s_delay_alu instid0(VALU_DEP_2) | instskip(SKIP_1) | instid1(VALU_DEP_3)
	v_mul_lo_u32 v6, v1, s62
	v_mul_lo_u32 v1, v1, s63
	v_sub_nc_u32_e32 v4, v4, v9
	s_delay_alu instid0(VALU_DEP_3) | instskip(NEXT) | instid1(VALU_DEP_2)
	v_add3_u32 v5, v5, v29, v6
	v_mul_lo_u32 v9, v4, s66
	v_mul_lo_u32 v4, v4, s67
	v_add3_u32 v1, v7, v2, v1
	s_delay_alu instid0(VALU_DEP_3) | instskip(NEXT) | instid1(VALU_DEP_2)
	v_add3_u32 v29, v8, v5, v9
	v_add3_u32 v2, v3, v1, v4
	s_cbranch_scc0 .LBB11_864
	s_branch .LBB11_867
.LBB11_865:
	s_mov_b32 s4, -1
                                        ; implicit-def: $vgpr29
                                        ; implicit-def: $vgpr2
	s_branch .LBB11_870
.LBB11_866:
	v_mov_b32_e32 v0, v30
	v_mov_b32_e32 v2, 0
.LBB11_867:
	s_and_b32 s6, s6, 3
	s_delay_alu instid0(SALU_CYCLE_1)
	s_cmp_eq_u32 s6, 0
	s_cbranch_scc1 .LBB11_870
; %bb.868:
	s_lshl_b32 s0, s5, 3
	s_mul_i32 s2, s5, 12
	s_add_u32 s0, s0, s14
	s_addc_u32 s1, s15, 0
	s_add_u32 s0, s0, 0xc4
	s_addc_u32 s1, s1, 0
	;; [unrolled: 2-line block ×3, first 2 shown]
	.p2align	6
.LBB11_869:                             ; =>This Inner Loop Header: Depth=1
	s_clause 0x1
	s_load_b64 s[8:9], s[2:3], 0x4
	s_load_b32 s5, s[2:3], 0xc
	s_load_b64 s[10:11], s[0:1], 0x0
	s_add_u32 s2, s2, 12
	s_addc_u32 s3, s3, 0
	s_add_u32 s0, s0, 8
	s_addc_u32 s1, s1, 0
	s_add_i32 s6, s6, -1
	s_delay_alu instid0(SALU_CYCLE_1) | instskip(SKIP_2) | instid1(VALU_DEP_1)
	s_cmp_lg_u32 s6, 0
	s_waitcnt lgkmcnt(0)
	v_mul_hi_u32 v1, s9, v0
	v_add_nc_u32_e32 v1, v0, v1
	s_delay_alu instid0(VALU_DEP_1) | instskip(NEXT) | instid1(VALU_DEP_1)
	v_lshrrev_b32_e32 v1, s5, v1
	v_mul_lo_u32 v3, v1, s8
	s_delay_alu instid0(VALU_DEP_1) | instskip(NEXT) | instid1(VALU_DEP_1)
	v_sub_nc_u32_e32 v0, v0, v3
	v_mad_u64_u32 v[3:4], null, v0, s10, v[29:30]
	s_delay_alu instid0(VALU_DEP_1) | instskip(SKIP_1) | instid1(VALU_DEP_2)
	v_mad_u64_u32 v[4:5], null, v0, s11, v[2:3]
	v_dual_mov_b32 v0, v1 :: v_dual_mov_b32 v29, v3
	v_mov_b32_e32 v2, v4
	s_cbranch_scc1 .LBB11_869
.LBB11_870:
	s_and_not1_b32 vcc_lo, exec_lo, s4
	s_cbranch_vccnz .LBB11_873
; %bb.871:
	s_waitcnt lgkmcnt(0)
	v_mul_hi_u32 v0, s25, v30
	s_and_not1_b32 vcc_lo, exec_lo, s40
	s_delay_alu instid0(VALU_DEP_1) | instskip(NEXT) | instid1(VALU_DEP_1)
	v_add_nc_u32_e32 v0, v30, v0
	v_lshrrev_b32_e32 v0, s26, v0
	s_delay_alu instid0(VALU_DEP_1) | instskip(NEXT) | instid1(VALU_DEP_1)
	v_mul_lo_u32 v1, v0, s24
	v_sub_nc_u32_e32 v1, v30, v1
	s_delay_alu instid0(VALU_DEP_1)
	v_mul_lo_u32 v29, v1, s20
	v_mul_lo_u32 v2, v1, s21
	s_cbranch_vccnz .LBB11_873
; %bb.872:
	v_mul_hi_u32 v1, s28, v0
	s_delay_alu instid0(VALU_DEP_1) | instskip(NEXT) | instid1(VALU_DEP_1)
	v_add_nc_u32_e32 v1, v0, v1
	v_lshrrev_b32_e32 v1, s29, v1
	s_delay_alu instid0(VALU_DEP_1) | instskip(NEXT) | instid1(VALU_DEP_1)
	v_mul_lo_u32 v1, v1, s27
	v_sub_nc_u32_e32 v5, v0, v1
	s_delay_alu instid0(VALU_DEP_1) | instskip(SKIP_1) | instid1(VALU_DEP_1)
	v_mad_u64_u32 v[0:1], null, v5, s22, v[29:30]
	v_mad_u64_u32 v[3:4], null, v5, s23, v[2:3]
	v_dual_mov_b32 v29, v0 :: v_dual_mov_b32 v2, v3
.LBB11_873:
	s_waitcnt lgkmcnt(0)
	v_dual_mov_b32 v0, s18 :: v_dual_mov_b32 v1, s19
	v_mov_b32_e32 v3, v28
	s_getpc_b64 s[0:1]
	s_add_u32 s0, s0, _ZN2at6native6invokeIZZZNS0_12_GLOBAL__N_130modified_bessel_k0_kernel_cudaERNS_18TensorIteratorBaseEENKUlvE_clEvENKUlvE_clEvEUldE_j15function_traitsIS7_EEENT1_11result_typeERKT_PrKPcPKT0_PKN3c1010ScalarTypeEi@rel32@lo+4
	s_addc_u32 s1, s1, _ZN2at6native6invokeIZZZNS0_12_GLOBAL__N_130modified_bessel_k0_kernel_cudaERNS_18TensorIteratorBaseEENKUlvE_clEvENKUlvE_clEvEUldE_j15function_traitsIS7_EEENT1_11result_typeERKT_PrKPcPKT0_PKN3c1010ScalarTypeEi@rel32@hi+12
	s_delay_alu instid0(SALU_CYCLE_1) | instskip(SKIP_2) | instid1(VALU_DEP_1)
	s_swappc_b64 s[30:31], s[0:1]
	v_and_b32_e32 v6, 0xff, v31
	v_add_co_u32 v4, s0, s16, v29
	v_add_co_ci_u32_e64 v5, null, s17, 0, s0
	s_delay_alu instid0(VALU_DEP_3)
	v_cmp_gt_i16_e32 vcc_lo, 11, v6
	s_mov_b32 s1, 0
	s_mov_b32 s2, -1
	s_mov_b32 s0, s46
	s_cbranch_vccnz .LBB11_880
; %bb.874:
	v_cmp_lt_i16_e32 vcc_lo, 25, v6
	s_cbranch_vccz .LBB11_920
; %bb.875:
	v_cmp_lt_i16_e32 vcc_lo, 28, v6
	s_cbranch_vccz .LBB11_921
; %bb.876:
	v_cmp_lt_i16_e32 vcc_lo, 43, v6
	s_cbranch_vccz .LBB11_924
; %bb.877:
	v_cmp_lt_i16_e32 vcc_lo, 45, v6
	s_cbranch_vccz .LBB11_935
; %bb.878:
	v_cmp_eq_u16_e32 vcc_lo, 46, v6
	s_mov_b32 s2, 0
	s_mov_b32 s0, -1
	s_cbranch_vccz .LBB11_936
; %bb.879:
	v_cvt_f32_f64_e32 v2, v[0:1]
	s_mov_b32 s1, -1
	s_mov_b32 s0, 0
	s_delay_alu instid0(VALU_DEP_1) | instskip(SKIP_1) | instid1(VALU_DEP_2)
	v_bfe_u32 v3, v2, 16, 1
	v_cmp_o_f32_e32 vcc_lo, v2, v2
	v_add3_u32 v3, v2, v3, 0x7fff
	s_delay_alu instid0(VALU_DEP_1) | instskip(NEXT) | instid1(VALU_DEP_1)
	v_lshrrev_b32_e32 v3, 16, v3
	v_cndmask_b32_e32 v2, 0x7fc0, v3, vcc_lo
	global_store_b32 v[4:5], v2, off
	s_branch .LBB11_936
.LBB11_880:
	s_and_b32 vcc_lo, exec_lo, s2
	s_cbranch_vccz .LBB11_1005
; %bb.881:
	v_cmp_gt_i16_e32 vcc_lo, 5, v6
	s_mov_b32 s1, -1
	s_cbranch_vccnz .LBB11_902
; %bb.882:
	v_cmp_gt_i16_e32 vcc_lo, 8, v6
	s_cbranch_vccnz .LBB11_892
; %bb.883:
	v_cmp_gt_i16_e32 vcc_lo, 9, v6
	s_cbranch_vccnz .LBB11_889
; %bb.884:
	v_cmp_lt_i16_e32 vcc_lo, 9, v6
	s_cbranch_vccz .LBB11_886
; %bb.885:
	v_mov_b32_e32 v2, 0
	s_mov_b32 s1, 0
	s_delay_alu instid0(VALU_DEP_1)
	v_mov_b32_e32 v3, v2
	global_store_b128 v[4:5], v[0:3], off
.LBB11_886:
	s_and_not1_b32 vcc_lo, exec_lo, s1
	s_cbranch_vccnz .LBB11_888
; %bb.887:
	v_cvt_f32_f64_e32 v2, v[0:1]
	v_mov_b32_e32 v3, 0
	global_store_b64 v[4:5], v[2:3], off
.LBB11_888:
	s_mov_b32 s1, 0
.LBB11_889:
	s_delay_alu instid0(SALU_CYCLE_1)
	s_and_not1_b32 vcc_lo, exec_lo, s1
	s_cbranch_vccnz .LBB11_891
; %bb.890:
	v_cvt_f32_f64_e32 v2, v[0:1]
	s_delay_alu instid0(VALU_DEP_1) | instskip(NEXT) | instid1(VALU_DEP_1)
	v_cvt_f16_f32_e32 v2, v2
	v_and_b32_e32 v2, 0xffff, v2
	global_store_b32 v[4:5], v2, off
.LBB11_891:
	s_mov_b32 s1, 0
.LBB11_892:
	s_delay_alu instid0(SALU_CYCLE_1)
	s_and_not1_b32 vcc_lo, exec_lo, s1
	s_cbranch_vccnz .LBB11_901
; %bb.893:
	v_cmp_gt_i16_e32 vcc_lo, 6, v6
	s_mov_b32 s1, -1
	s_cbranch_vccnz .LBB11_899
; %bb.894:
	v_cmp_lt_i16_e32 vcc_lo, 6, v6
	s_cbranch_vccz .LBB11_896
; %bb.895:
	s_mov_b32 s1, 0
	global_store_b64 v[4:5], v[0:1], off
.LBB11_896:
	s_and_not1_b32 vcc_lo, exec_lo, s1
	s_cbranch_vccnz .LBB11_898
; %bb.897:
	v_cvt_f32_f64_e32 v2, v[0:1]
	global_store_b32 v[4:5], v2, off
.LBB11_898:
	s_mov_b32 s1, 0
.LBB11_899:
	s_delay_alu instid0(SALU_CYCLE_1)
	s_and_not1_b32 vcc_lo, exec_lo, s1
	s_cbranch_vccnz .LBB11_901
; %bb.900:
	v_cvt_f32_f64_e32 v2, v[0:1]
	s_delay_alu instid0(VALU_DEP_1)
	v_cvt_f16_f32_e32 v2, v2
	global_store_b16 v[4:5], v2, off
.LBB11_901:
	s_mov_b32 s1, 0
.LBB11_902:
	s_delay_alu instid0(SALU_CYCLE_1)
	s_and_not1_b32 vcc_lo, exec_lo, s1
	s_cbranch_vccnz .LBB11_918
; %bb.903:
	v_cmp_gt_i16_e32 vcc_lo, 2, v6
	s_mov_b32 s1, -1
	s_cbranch_vccnz .LBB11_913
; %bb.904:
	v_cmp_gt_i16_e32 vcc_lo, 3, v6
	s_cbranch_vccnz .LBB11_910
; %bb.905:
	v_cmp_lt_i16_e32 vcc_lo, 3, v6
	s_cbranch_vccz .LBB11_907
; %bb.906:
	v_trunc_f64_e32 v[2:3], v[0:1]
	s_mov_b32 s1, 0
	s_delay_alu instid0(VALU_DEP_1) | instskip(NEXT) | instid1(VALU_DEP_1)
	v_ldexp_f64 v[7:8], v[2:3], 0xffffffe0
	v_floor_f64_e32 v[7:8], v[7:8]
	s_delay_alu instid0(VALU_DEP_1) | instskip(SKIP_1) | instid1(VALU_DEP_2)
	v_fma_f64 v[2:3], 0xc1f00000, v[7:8], v[2:3]
	v_cvt_i32_f64_e32 v8, v[7:8]
	v_cvt_u32_f64_e32 v7, v[2:3]
	global_store_b64 v[4:5], v[7:8], off
.LBB11_907:
	s_and_not1_b32 vcc_lo, exec_lo, s1
	s_cbranch_vccnz .LBB11_909
; %bb.908:
	v_cvt_i32_f64_e32 v2, v[0:1]
	global_store_b32 v[4:5], v2, off
.LBB11_909:
	s_mov_b32 s1, 0
.LBB11_910:
	s_delay_alu instid0(SALU_CYCLE_1)
	s_and_not1_b32 vcc_lo, exec_lo, s1
	s_cbranch_vccnz .LBB11_912
; %bb.911:
	v_cvt_i32_f64_e32 v2, v[0:1]
	global_store_b16 v[4:5], v2, off
.LBB11_912:
	s_mov_b32 s1, 0
.LBB11_913:
	s_delay_alu instid0(SALU_CYCLE_1)
	s_and_not1_b32 vcc_lo, exec_lo, s1
	s_cbranch_vccnz .LBB11_918
; %bb.914:
	v_cmp_lt_i16_e32 vcc_lo, 0, v6
	s_mov_b32 s1, -1
	s_cbranch_vccz .LBB11_916
; %bb.915:
	v_cvt_i32_f64_e32 v2, v[0:1]
	s_mov_b32 s1, 0
	global_store_b8 v[4:5], v2, off
.LBB11_916:
	s_and_not1_b32 vcc_lo, exec_lo, s1
	s_cbranch_vccnz .LBB11_918
; %bb.917:
	v_trunc_f64_e32 v[0:1], v[0:1]
	s_delay_alu instid0(VALU_DEP_1) | instskip(NEXT) | instid1(VALU_DEP_1)
	v_ldexp_f64 v[2:3], v[0:1], 0xffffffe0
	v_floor_f64_e32 v[2:3], v[2:3]
	s_delay_alu instid0(VALU_DEP_1) | instskip(NEXT) | instid1(VALU_DEP_1)
	v_fma_f64 v[0:1], 0xc1f00000, v[2:3], v[0:1]
	v_cvt_u32_f64_e32 v0, v[0:1]
	global_store_b8 v[4:5], v0, off
.LBB11_918:
	s_branch .LBB11_1006
.LBB11_919:
	s_mov_b32 s1, 0
                                        ; implicit-def: $vgpr30
	s_branch .LBB11_1007
.LBB11_920:
	s_mov_b32 s0, s46
	s_branch .LBB11_963
.LBB11_921:
	s_mov_b32 s0, s46
	s_branch .LBB11_946
.LBB11_922:
	s_or_saveexec_b32 s3, s3
                                        ; implicit-def: $sgpr4
	s_delay_alu instid0(SALU_CYCLE_1)
	s_xor_b32 exec_lo, exec_lo, s3
	s_cbranch_execz .LBB11_807
.LBB11_923:
	v_add_f32_e64 v3, 0x46000000, |v2|
	s_and_not1_b32 s2, s2, exec_lo
	s_mov_b32 s4, 0
	s_delay_alu instid0(VALU_DEP_1) | instskip(NEXT) | instid1(VALU_DEP_1)
	v_and_b32_e32 v3, 0xff, v3
	v_cmp_ne_u32_e32 vcc_lo, 0, v3
	s_and_b32 s5, vcc_lo, exec_lo
	s_delay_alu instid0(SALU_CYCLE_1)
	s_or_b32 s2, s2, s5
	s_or_b32 exec_lo, exec_lo, s3
	v_mov_b32_e32 v7, s4
	s_and_saveexec_b32 s3, s2
	s_cbranch_execnz .LBB11_808
	s_branch .LBB11_809
.LBB11_924:
	s_mov_b32 s0, s46
	s_branch .LBB11_942
.LBB11_925:
	s_or_saveexec_b32 s4, s4
                                        ; implicit-def: $sgpr5
	s_delay_alu instid0(SALU_CYCLE_1)
	s_xor_b32 exec_lo, exec_lo, s4
	s_cbranch_execz .LBB11_395
.LBB11_926:
	v_add_f32_e64 v5, 0x42800000, |v4|
	s_and_not1_b32 s3, s3, exec_lo
	s_mov_b32 s5, 0
	s_delay_alu instid0(VALU_DEP_1) | instskip(NEXT) | instid1(VALU_DEP_1)
	v_and_b32_e32 v5, 0xff, v5
	v_cmp_ne_u32_e32 vcc_lo, 0, v5
	s_and_b32 s6, vcc_lo, exec_lo
	s_delay_alu instid0(SALU_CYCLE_1)
	s_or_b32 s3, s3, s6
	s_or_b32 exec_lo, exec_lo, s4
	v_mov_b32_e32 v7, s5
	s_and_saveexec_b32 s4, s3
	s_cbranch_execnz .LBB11_396
	s_branch .LBB11_397
.LBB11_927:
	s_or_saveexec_b32 s5, s5
                                        ; implicit-def: $sgpr6
	s_delay_alu instid0(SALU_CYCLE_1)
	s_xor_b32 exec_lo, exec_lo, s5
	s_cbranch_execz .LBB11_500
.LBB11_928:
	v_add_f32_e64 v5, 0x46000000, |v4|
	s_and_not1_b32 s4, s4, exec_lo
	s_mov_b32 s6, 0
	s_delay_alu instid0(VALU_DEP_1) | instskip(NEXT) | instid1(VALU_DEP_1)
	v_and_b32_e32 v5, 0xff, v5
	v_cmp_ne_u32_e32 vcc_lo, 0, v5
	s_and_b32 s7, vcc_lo, exec_lo
	s_delay_alu instid0(SALU_CYCLE_1)
	s_or_b32 s4, s4, s7
	s_or_b32 exec_lo, exec_lo, s5
	v_mov_b32_e32 v7, s6
	s_and_saveexec_b32 s5, s4
	s_cbranch_execnz .LBB11_501
	s_branch .LBB11_502
.LBB11_929:
	s_trap 2
	s_sendmsg_rtn_b32 s0, sendmsg(MSG_RTN_GET_DOORBELL)
	s_mov_b32 ttmp2, m0
	s_waitcnt lgkmcnt(0)
	s_and_b32 s0, s0, 0x3ff
	s_delay_alu instid0(SALU_CYCLE_1) | instskip(NEXT) | instid1(SALU_CYCLE_1)
	s_bitset1_b32 s0, 10
	s_mov_b32 m0, s0
	s_sendmsg sendmsg(MSG_INTERRUPT)
	s_mov_b32 m0, ttmp2
.LBB11_930:                             ; =>This Inner Loop Header: Depth=1
	s_sethalt 5
	s_branch .LBB11_930
.LBB11_931:
	s_cbranch_execnz .LBB11_1112
; %bb.932:
	s_or_b32 s1, s1, exec_lo
	s_cbranch_execz .LBB11_548
	s_branch .LBB11_549
.LBB11_933:
	s_or_saveexec_b32 s3, s3
                                        ; implicit-def: $sgpr4
	s_delay_alu instid0(SALU_CYCLE_1)
	s_xor_b32 exec_lo, exec_lo, s3
	s_cbranch_execz .LBB11_820
.LBB11_934:
	v_add_f32_e64 v3, 0x42800000, |v2|
	s_and_not1_b32 s2, s2, exec_lo
	s_mov_b32 s4, 0
	s_delay_alu instid0(VALU_DEP_1) | instskip(NEXT) | instid1(VALU_DEP_1)
	v_and_b32_e32 v3, 0xff, v3
	v_cmp_ne_u32_e32 vcc_lo, 0, v3
	s_and_b32 s5, vcc_lo, exec_lo
	s_delay_alu instid0(SALU_CYCLE_1)
	s_or_b32 s2, s2, s5
	s_or_b32 exec_lo, exec_lo, s3
	v_mov_b32_e32 v7, s4
	s_and_saveexec_b32 s3, s2
	s_cbranch_execnz .LBB11_821
	s_branch .LBB11_822
.LBB11_935:
	s_mov_b32 s0, s46
.LBB11_936:
	s_and_b32 vcc_lo, exec_lo, s2
	s_cbranch_vccz .LBB11_941
; %bb.937:
	v_cmp_eq_u16_e32 vcc_lo, 44, v6
	s_mov_b32 s0, -1
	s_cbranch_vccz .LBB11_941
; %bb.938:
	v_cvt_f32_f64_e32 v2, v[0:1]
	v_mov_b32_e32 v3, 0xff
	s_mov_b32 s1, exec_lo
	s_delay_alu instid0(VALU_DEP_2) | instskip(NEXT) | instid1(VALU_DEP_1)
	v_bfe_u32 v7, v2, 23, 8
	v_cmpx_ne_u32_e32 0xff, v7
; %bb.939:
	v_and_b32_e32 v3, 0x400000, v2
	v_and_or_b32 v7, 0x3fffff, v2, v7
	v_lshrrev_b32_e32 v2, 23, v2
	s_delay_alu instid0(VALU_DEP_3) | instskip(NEXT) | instid1(VALU_DEP_3)
	v_cmp_ne_u32_e32 vcc_lo, 0, v3
	v_cmp_ne_u32_e64 s0, 0, v7
	s_delay_alu instid0(VALU_DEP_1) | instskip(NEXT) | instid1(SALU_CYCLE_1)
	s_and_b32 s0, vcc_lo, s0
	v_cndmask_b32_e64 v3, 0, 1, s0
	s_delay_alu instid0(VALU_DEP_1)
	v_add_nc_u32_e32 v3, v2, v3
; %bb.940:
	s_or_b32 exec_lo, exec_lo, s1
	s_mov_b32 s1, -1
	s_mov_b32 s0, 0
	global_store_b8 v[4:5], v3, off
.LBB11_941:
	s_mov_b32 s2, 0
.LBB11_942:
	s_delay_alu instid0(SALU_CYCLE_1)
	s_and_b32 vcc_lo, exec_lo, s2
	s_cbranch_vccz .LBB11_945
; %bb.943:
	v_cmp_eq_u16_e32 vcc_lo, 29, v6
	s_mov_b32 s0, -1
	s_cbranch_vccz .LBB11_945
; %bb.944:
	v_trunc_f64_e32 v[2:3], v[0:1]
	s_mov_b32 s1, -1
	s_mov_b32 s0, 0
	s_mov_b32 s2, 0
	s_delay_alu instid0(VALU_DEP_1) | instskip(NEXT) | instid1(VALU_DEP_1)
	v_ldexp_f64 v[7:8], v[2:3], 0xffffffe0
	v_floor_f64_e32 v[7:8], v[7:8]
	s_delay_alu instid0(VALU_DEP_1) | instskip(SKIP_1) | instid1(VALU_DEP_2)
	v_fma_f64 v[2:3], 0xc1f00000, v[7:8], v[2:3]
	v_cvt_u32_f64_e32 v8, v[7:8]
	v_cvt_u32_f64_e32 v7, v[2:3]
	global_store_b64 v[4:5], v[7:8], off
	s_branch .LBB11_946
.LBB11_945:
	s_mov_b32 s2, 0
.LBB11_946:
	s_delay_alu instid0(SALU_CYCLE_1)
	s_and_b32 vcc_lo, exec_lo, s2
	s_cbranch_vccz .LBB11_962
; %bb.947:
	v_cmp_gt_i16_e32 vcc_lo, 27, v6
	s_mov_b32 s1, -1
	s_cbranch_vccnz .LBB11_953
; %bb.948:
	v_cmp_lt_i16_e32 vcc_lo, 27, v6
	s_cbranch_vccz .LBB11_950
; %bb.949:
	v_cvt_u32_f64_e32 v2, v[0:1]
	s_mov_b32 s1, 0
	global_store_b32 v[4:5], v2, off
.LBB11_950:
	s_and_not1_b32 vcc_lo, exec_lo, s1
	s_cbranch_vccnz .LBB11_952
; %bb.951:
	v_cvt_u32_f64_e32 v2, v[0:1]
	global_store_b16 v[4:5], v2, off
.LBB11_952:
	s_mov_b32 s1, 0
.LBB11_953:
	s_delay_alu instid0(SALU_CYCLE_1)
	s_and_not1_b32 vcc_lo, exec_lo, s1
	s_cbranch_vccnz .LBB11_961
; %bb.954:
	v_cvt_f32_f64_e32 v2, v[0:1]
	v_mov_b32_e32 v7, 0x80
	s_mov_b32 s1, exec_lo
	s_delay_alu instid0(VALU_DEP_2) | instskip(NEXT) | instid1(VALU_DEP_1)
	v_and_b32_e32 v3, 0x7fffffff, v2
	v_cmpx_gt_u32_e32 0x43800000, v3
	s_cbranch_execz .LBB11_960
; %bb.955:
	v_cmp_lt_u32_e32 vcc_lo, 0x3bffffff, v3
	s_mov_b32 s2, 0
                                        ; implicit-def: $vgpr3
	s_and_saveexec_b32 s3, vcc_lo
	s_delay_alu instid0(SALU_CYCLE_1)
	s_xor_b32 s3, exec_lo, s3
	s_cbranch_execz .LBB11_1106
; %bb.956:
	v_bfe_u32 v3, v2, 20, 1
	s_mov_b32 s2, exec_lo
	s_delay_alu instid0(VALU_DEP_1) | instskip(NEXT) | instid1(VALU_DEP_1)
	v_add3_u32 v3, v2, v3, 0x487ffff
	v_lshrrev_b32_e32 v3, 20, v3
	s_or_saveexec_b32 s3, s3
                                        ; implicit-def: $sgpr4
	s_delay_alu instid0(SALU_CYCLE_1)
	s_xor_b32 exec_lo, exec_lo, s3
	s_cbranch_execnz .LBB11_1107
.LBB11_957:
	s_or_b32 exec_lo, exec_lo, s3
	v_mov_b32_e32 v7, s4
	s_and_saveexec_b32 s3, s2
.LBB11_958:
	v_lshrrev_b32_e32 v2, 24, v2
	s_delay_alu instid0(VALU_DEP_1)
	v_and_or_b32 v7, 0x80, v2, v3
.LBB11_959:
	s_or_b32 exec_lo, exec_lo, s3
.LBB11_960:
	s_delay_alu instid0(SALU_CYCLE_1)
	s_or_b32 exec_lo, exec_lo, s1
	global_store_b8 v[4:5], v7, off
.LBB11_961:
	s_mov_b32 s1, -1
.LBB11_962:
	s_mov_b32 s2, 0
.LBB11_963:
	s_delay_alu instid0(SALU_CYCLE_1)
	s_and_b32 vcc_lo, exec_lo, s2
	s_cbranch_vccz .LBB11_1004
; %bb.964:
	v_cmp_lt_i16_e32 vcc_lo, 22, v6
	s_mov_b32 s2, -1
	s_cbranch_vccz .LBB11_996
; %bb.965:
	v_cmp_gt_i16_e32 vcc_lo, 24, v6
	s_mov_b32 s1, -1
	s_cbranch_vccnz .LBB11_985
; %bb.966:
	v_cmp_lt_i16_e32 vcc_lo, 24, v6
	s_cbranch_vccz .LBB11_974
; %bb.967:
	v_cvt_f32_f64_e32 v2, v[0:1]
	v_mov_b32_e32 v7, 0x80
	s_mov_b32 s1, exec_lo
	s_delay_alu instid0(VALU_DEP_2) | instskip(NEXT) | instid1(VALU_DEP_1)
	v_and_b32_e32 v3, 0x7fffffff, v2
	v_cmpx_gt_u32_e32 0x47800000, v3
	s_cbranch_execz .LBB11_973
; %bb.968:
	v_cmp_lt_u32_e32 vcc_lo, 0x37ffffff, v3
	s_mov_b32 s2, 0
                                        ; implicit-def: $vgpr3
	s_and_saveexec_b32 s3, vcc_lo
	s_delay_alu instid0(SALU_CYCLE_1)
	s_xor_b32 s3, exec_lo, s3
	s_cbranch_execz .LBB11_1116
; %bb.969:
	v_bfe_u32 v3, v2, 21, 1
	s_mov_b32 s2, exec_lo
	s_delay_alu instid0(VALU_DEP_1) | instskip(NEXT) | instid1(VALU_DEP_1)
	v_add3_u32 v3, v2, v3, 0x88fffff
	v_lshrrev_b32_e32 v3, 21, v3
	s_or_saveexec_b32 s3, s3
                                        ; implicit-def: $sgpr4
	s_delay_alu instid0(SALU_CYCLE_1)
	s_xor_b32 exec_lo, exec_lo, s3
	s_cbranch_execnz .LBB11_1117
.LBB11_970:
	s_or_b32 exec_lo, exec_lo, s3
	v_mov_b32_e32 v7, s4
	s_and_saveexec_b32 s3, s2
.LBB11_971:
	v_lshrrev_b32_e32 v2, 24, v2
	s_delay_alu instid0(VALU_DEP_1)
	v_and_or_b32 v7, 0x80, v2, v3
.LBB11_972:
	s_or_b32 exec_lo, exec_lo, s3
.LBB11_973:
	s_delay_alu instid0(SALU_CYCLE_1)
	s_or_b32 exec_lo, exec_lo, s1
	s_mov_b32 s1, 0
	global_store_b8 v[4:5], v7, off
.LBB11_974:
	s_and_b32 vcc_lo, exec_lo, s1
	s_cbranch_vccz .LBB11_984
; %bb.975:
	v_cvt_f32_f64_e32 v2, v[0:1]
	s_mov_b32 s1, exec_lo
                                        ; implicit-def: $vgpr3
	s_delay_alu instid0(VALU_DEP_1) | instskip(NEXT) | instid1(VALU_DEP_1)
	v_and_b32_e32 v7, 0x7fffffff, v2
	v_cmpx_gt_u32_e32 0x43f00000, v7
	s_xor_b32 s1, exec_lo, s1
	s_cbranch_execz .LBB11_981
; %bb.976:
	s_mov_b32 s2, exec_lo
                                        ; implicit-def: $vgpr3
	v_cmpx_lt_u32_e32 0x3c7fffff, v7
	s_xor_b32 s2, exec_lo, s2
; %bb.977:
	v_bfe_u32 v3, v2, 20, 1
	s_delay_alu instid0(VALU_DEP_1) | instskip(NEXT) | instid1(VALU_DEP_1)
	v_add3_u32 v3, v2, v3, 0x407ffff
	v_and_b32_e32 v7, 0xff00000, v3
	v_lshrrev_b32_e32 v3, 20, v3
	s_delay_alu instid0(VALU_DEP_2) | instskip(NEXT) | instid1(VALU_DEP_2)
	v_cmp_ne_u32_e32 vcc_lo, 0x7f00000, v7
	v_cndmask_b32_e32 v3, 0x7e, v3, vcc_lo
; %bb.978:
	s_and_not1_saveexec_b32 s2, s2
; %bb.979:
	v_add_f32_e64 v3, 0x46800000, |v2|
; %bb.980:
	s_or_b32 exec_lo, exec_lo, s2
                                        ; implicit-def: $vgpr7
.LBB11_981:
	s_and_not1_saveexec_b32 s1, s1
; %bb.982:
	v_mov_b32_e32 v3, 0x7f
	v_cmp_lt_u32_e32 vcc_lo, 0x7f800000, v7
	s_delay_alu instid0(VALU_DEP_2)
	v_cndmask_b32_e32 v3, 0x7e, v3, vcc_lo
; %bb.983:
	s_or_b32 exec_lo, exec_lo, s1
	v_lshrrev_b32_e32 v2, 24, v2
	s_delay_alu instid0(VALU_DEP_1)
	v_and_or_b32 v2, 0x80, v2, v3
	global_store_b8 v[4:5], v2, off
.LBB11_984:
	s_mov_b32 s1, 0
.LBB11_985:
	s_delay_alu instid0(SALU_CYCLE_1)
	s_and_not1_b32 vcc_lo, exec_lo, s1
	s_cbranch_vccnz .LBB11_995
; %bb.986:
	v_cvt_f32_f64_e32 v2, v[0:1]
	s_mov_b32 s1, exec_lo
                                        ; implicit-def: $vgpr3
	s_delay_alu instid0(VALU_DEP_1) | instskip(NEXT) | instid1(VALU_DEP_1)
	v_and_b32_e32 v7, 0x7fffffff, v2
	v_cmpx_gt_u32_e32 0x47800000, v7
	s_xor_b32 s1, exec_lo, s1
	s_cbranch_execz .LBB11_992
; %bb.987:
	s_mov_b32 s2, exec_lo
                                        ; implicit-def: $vgpr3
	v_cmpx_lt_u32_e32 0x387fffff, v7
	s_xor_b32 s2, exec_lo, s2
; %bb.988:
	v_bfe_u32 v3, v2, 21, 1
	s_delay_alu instid0(VALU_DEP_1) | instskip(NEXT) | instid1(VALU_DEP_1)
	v_add3_u32 v3, v2, v3, 0x80fffff
	v_lshrrev_b32_e32 v3, 21, v3
; %bb.989:
	s_and_not1_saveexec_b32 s2, s2
; %bb.990:
	v_add_f32_e64 v3, 0x43000000, |v2|
; %bb.991:
	s_or_b32 exec_lo, exec_lo, s2
                                        ; implicit-def: $vgpr7
.LBB11_992:
	s_and_not1_saveexec_b32 s1, s1
; %bb.993:
	v_mov_b32_e32 v3, 0x7f
	v_cmp_lt_u32_e32 vcc_lo, 0x7f800000, v7
	s_delay_alu instid0(VALU_DEP_2)
	v_cndmask_b32_e32 v3, 0x7c, v3, vcc_lo
; %bb.994:
	s_or_b32 exec_lo, exec_lo, s1
	v_lshrrev_b32_e32 v2, 24, v2
	s_delay_alu instid0(VALU_DEP_1)
	v_and_or_b32 v2, 0x80, v2, v3
	global_store_b8 v[4:5], v2, off
.LBB11_995:
	s_mov_b32 s2, 0
	s_mov_b32 s1, -1
.LBB11_996:
	s_and_not1_b32 vcc_lo, exec_lo, s2
	s_cbranch_vccnz .LBB11_1004
; %bb.997:
	v_cmp_lt_i16_e32 vcc_lo, 14, v6
	s_mov_b32 s2, -1
	s_cbranch_vccz .LBB11_1001
; %bb.998:
	v_cmp_eq_u16_e32 vcc_lo, 15, v6
	s_mov_b32 s0, -1
	s_cbranch_vccz .LBB11_1000
; %bb.999:
	v_cvt_f32_f64_e32 v2, v[0:1]
	s_mov_b32 s1, -1
	s_mov_b32 s0, 0
	s_delay_alu instid0(VALU_DEP_1) | instskip(SKIP_1) | instid1(VALU_DEP_2)
	v_bfe_u32 v3, v2, 16, 1
	v_cmp_o_f32_e32 vcc_lo, v2, v2
	v_add3_u32 v3, v2, v3, 0x7fff
	s_delay_alu instid0(VALU_DEP_1) | instskip(NEXT) | instid1(VALU_DEP_1)
	v_lshrrev_b32_e32 v3, 16, v3
	v_cndmask_b32_e32 v2, 0x7fc0, v3, vcc_lo
	global_store_b16 v[4:5], v2, off
.LBB11_1000:
	s_mov_b32 s2, 0
.LBB11_1001:
	s_delay_alu instid0(SALU_CYCLE_1)
	s_and_b32 vcc_lo, exec_lo, s2
	s_cbranch_vccz .LBB11_1004
; %bb.1002:
	v_cmp_eq_u16_e32 vcc_lo, 11, v6
	s_mov_b32 s0, -1
	s_cbranch_vccz .LBB11_1004
; %bb.1003:
	v_cmp_neq_f64_e32 vcc_lo, 0, v[0:1]
	s_mov_b32 s1, -1
	s_mov_b32 s0, 0
	v_cndmask_b32_e64 v2, 0, 1, vcc_lo
	global_store_b8 v[4:5], v2, off
.LBB11_1004:
.LBB11_1005:
	s_and_not1_b32 vcc_lo, exec_lo, s1
	s_cbranch_vccnz .LBB11_919
.LBB11_1006:
	v_add_nc_u32_e32 v30, 0x80, v30
	s_mov_b32 s1, -1
.LBB11_1007:
	s_and_not1_b32 s2, s46, exec_lo
	s_and_b32 s0, s0, exec_lo
	s_delay_alu instid0(SALU_CYCLE_1)
	s_or_b32 s49, s2, s0
	s_or_not1_b32 s2, s1, exec_lo
.LBB11_1008:
	s_or_b32 exec_lo, exec_lo, s48
	s_mov_b32 s0, 0
	s_mov_b32 s1, 0
                                        ; implicit-def: $vgpr6
                                        ; implicit-def: $vgpr4_vgpr5
                                        ; implicit-def: $vgpr0_vgpr1
	s_and_saveexec_b32 s48, s2
	s_cbranch_execz .LBB11_1100
; %bb.1009:
	v_cmp_gt_i32_e32 vcc_lo, s41, v30
	s_mov_b32 s2, s49
                                        ; implicit-def: $vgpr6
                                        ; implicit-def: $vgpr4_vgpr5
                                        ; implicit-def: $vgpr0_vgpr1
	s_and_saveexec_b32 s41, vcc_lo
	s_cbranch_execz .LBB11_1099
; %bb.1010:
	s_and_not1_b32 vcc_lo, exec_lo, s38
	s_cbranch_vccnz .LBB11_1015
; %bb.1011:
	v_dual_mov_b32 v29, 0 :: v_dual_mov_b32 v2, 0
	s_and_not1_b32 vcc_lo, exec_lo, s43
	s_mov_b32 s4, 0
	s_cbranch_vccnz .LBB11_1020
; %bb.1012:
	v_mov_b32_e32 v29, 0
	s_add_i32 s42, s42, 1
	s_cmp_eq_u32 s36, 2
	s_mov_b32 s2, 0
	s_cbranch_scc1 .LBB11_1016
; %bb.1013:
	v_dual_mov_b32 v2, 0 :: v_dual_mov_b32 v29, 0
	v_mov_b32_e32 v0, v30
	s_and_b32 s2, s42, 28
	s_mov_b32 s3, 0
	s_mov_b64 s[0:1], s[14:15]
.LBB11_1014:                            ; =>This Inner Loop Header: Depth=1
	s_clause 0x1
	s_load_b256 s[52:59], s[0:1], 0x4
	s_load_b128 s[8:11], s[0:1], 0x24
	s_load_b256 s[60:67], s[34:35], 0x0
	s_add_u32 s0, s0, 48
	s_addc_u32 s1, s1, 0
	s_add_i32 s3, s3, 4
	s_add_u32 s34, s34, 32
	s_addc_u32 s35, s35, 0
	s_cmp_eq_u32 s2, s3
	s_waitcnt lgkmcnt(0)
	v_mul_hi_u32 v1, s53, v0
	s_delay_alu instid0(VALU_DEP_1) | instskip(NEXT) | instid1(VALU_DEP_1)
	v_add_nc_u32_e32 v1, v0, v1
	v_lshrrev_b32_e32 v1, s54, v1
	s_delay_alu instid0(VALU_DEP_1) | instskip(SKIP_1) | instid1(VALU_DEP_2)
	v_mul_hi_u32 v3, s56, v1
	v_mul_lo_u32 v5, v1, s52
	v_add_nc_u32_e32 v3, v1, v3
	s_delay_alu instid0(VALU_DEP_2) | instskip(NEXT) | instid1(VALU_DEP_2)
	v_sub_nc_u32_e32 v0, v0, v5
	v_lshrrev_b32_e32 v3, s57, v3
	s_delay_alu instid0(VALU_DEP_2) | instskip(SKIP_1) | instid1(VALU_DEP_3)
	v_mul_lo_u32 v5, v0, s60
	v_mul_lo_u32 v7, v0, s61
	v_mul_hi_u32 v4, s59, v3
	s_delay_alu instid0(VALU_DEP_1) | instskip(NEXT) | instid1(VALU_DEP_1)
	v_add_nc_u32_e32 v4, v3, v4
	v_lshrrev_b32_e32 v4, s8, v4
	s_delay_alu instid0(VALU_DEP_1) | instskip(SKIP_1) | instid1(VALU_DEP_2)
	v_mul_hi_u32 v6, s10, v4
	v_mul_lo_u32 v8, v4, s58
	v_add_nc_u32_e32 v0, v4, v6
	v_mul_lo_u32 v6, v3, s55
	s_delay_alu instid0(VALU_DEP_3) | instskip(NEXT) | instid1(VALU_DEP_3)
	v_sub_nc_u32_e32 v3, v3, v8
	v_lshrrev_b32_e32 v0, s11, v0
	s_delay_alu instid0(VALU_DEP_2) | instskip(SKIP_2) | instid1(VALU_DEP_4)
	v_mul_lo_u32 v8, v3, s64
	v_mul_lo_u32 v3, v3, s65
	v_sub_nc_u32_e32 v1, v1, v6
	v_mul_lo_u32 v9, v0, s9
	s_delay_alu instid0(VALU_DEP_2) | instskip(SKIP_1) | instid1(VALU_DEP_3)
	v_mul_lo_u32 v6, v1, s62
	v_mul_lo_u32 v1, v1, s63
	v_sub_nc_u32_e32 v4, v4, v9
	s_delay_alu instid0(VALU_DEP_3) | instskip(NEXT) | instid1(VALU_DEP_2)
	v_add3_u32 v5, v5, v29, v6
	v_mul_lo_u32 v9, v4, s66
	v_mul_lo_u32 v4, v4, s67
	v_add3_u32 v1, v7, v2, v1
	s_delay_alu instid0(VALU_DEP_3) | instskip(NEXT) | instid1(VALU_DEP_2)
	v_add3_u32 v29, v8, v5, v9
	v_add3_u32 v2, v3, v1, v4
	s_cbranch_scc0 .LBB11_1014
	s_branch .LBB11_1017
.LBB11_1015:
	s_mov_b32 s4, -1
                                        ; implicit-def: $vgpr29
                                        ; implicit-def: $vgpr2
	s_branch .LBB11_1020
.LBB11_1016:
	v_mov_b32_e32 v0, v30
	v_mov_b32_e32 v2, 0
.LBB11_1017:
	s_and_b32 s5, s42, 3
	s_delay_alu instid0(SALU_CYCLE_1)
	s_cmp_eq_u32 s5, 0
	s_cbranch_scc1 .LBB11_1020
; %bb.1018:
	s_lshl_b32 s0, s2, 3
	s_mul_i32 s2, s2, 12
	s_add_u32 s0, s0, s14
	s_addc_u32 s1, s15, 0
	s_add_u32 s0, s0, 0xc4
	s_addc_u32 s1, s1, 0
	s_add_u32 s2, s14, s2
	s_addc_u32 s3, s15, 0
.LBB11_1019:                            ; =>This Inner Loop Header: Depth=1
	s_clause 0x1
	s_load_b64 s[6:7], s[2:3], 0x4
	s_load_b32 s10, s[2:3], 0xc
	s_load_b64 s[8:9], s[0:1], 0x0
	s_add_u32 s2, s2, 12
	s_addc_u32 s3, s3, 0
	s_add_u32 s0, s0, 8
	s_addc_u32 s1, s1, 0
	s_add_i32 s5, s5, -1
	s_delay_alu instid0(SALU_CYCLE_1) | instskip(SKIP_2) | instid1(VALU_DEP_1)
	s_cmp_lg_u32 s5, 0
	s_waitcnt lgkmcnt(0)
	v_mul_hi_u32 v1, s7, v0
	v_add_nc_u32_e32 v1, v0, v1
	s_delay_alu instid0(VALU_DEP_1) | instskip(NEXT) | instid1(VALU_DEP_1)
	v_lshrrev_b32_e32 v1, s10, v1
	v_mul_lo_u32 v3, v1, s6
	s_delay_alu instid0(VALU_DEP_1) | instskip(NEXT) | instid1(VALU_DEP_1)
	v_sub_nc_u32_e32 v0, v0, v3
	v_mad_u64_u32 v[3:4], null, v0, s8, v[29:30]
	s_delay_alu instid0(VALU_DEP_1) | instskip(SKIP_1) | instid1(VALU_DEP_2)
	v_mad_u64_u32 v[4:5], null, v0, s9, v[2:3]
	v_dual_mov_b32 v0, v1 :: v_dual_mov_b32 v29, v3
	v_mov_b32_e32 v2, v4
	s_cbranch_scc1 .LBB11_1019
.LBB11_1020:
	s_and_not1_b32 vcc_lo, exec_lo, s4
	s_cbranch_vccnz .LBB11_1023
; %bb.1021:
	s_waitcnt lgkmcnt(0)
	v_mul_hi_u32 v0, s25, v30
	s_and_not1_b32 vcc_lo, exec_lo, s40
	s_delay_alu instid0(VALU_DEP_1) | instskip(NEXT) | instid1(VALU_DEP_1)
	v_add_nc_u32_e32 v0, v30, v0
	v_lshrrev_b32_e32 v0, s26, v0
	s_delay_alu instid0(VALU_DEP_1) | instskip(NEXT) | instid1(VALU_DEP_1)
	v_mul_lo_u32 v1, v0, s24
	v_sub_nc_u32_e32 v1, v30, v1
	s_delay_alu instid0(VALU_DEP_1)
	v_mul_lo_u32 v29, v1, s20
	v_mul_lo_u32 v2, v1, s21
	s_cbranch_vccnz .LBB11_1023
; %bb.1022:
	v_mul_hi_u32 v1, s28, v0
	s_delay_alu instid0(VALU_DEP_1) | instskip(NEXT) | instid1(VALU_DEP_1)
	v_add_nc_u32_e32 v1, v0, v1
	v_lshrrev_b32_e32 v1, s29, v1
	s_delay_alu instid0(VALU_DEP_1) | instskip(NEXT) | instid1(VALU_DEP_1)
	v_mul_lo_u32 v1, v1, s27
	v_sub_nc_u32_e32 v5, v0, v1
	s_delay_alu instid0(VALU_DEP_1) | instskip(SKIP_1) | instid1(VALU_DEP_1)
	v_mad_u64_u32 v[0:1], null, v5, s22, v[29:30]
	v_mad_u64_u32 v[3:4], null, v5, s23, v[2:3]
	v_dual_mov_b32 v29, v0 :: v_dual_mov_b32 v2, v3
.LBB11_1023:
	s_waitcnt lgkmcnt(0)
	v_dual_mov_b32 v0, s18 :: v_dual_mov_b32 v1, s19
	v_mov_b32_e32 v3, v28
	s_getpc_b64 s[0:1]
	s_add_u32 s0, s0, _ZN2at6native6invokeIZZZNS0_12_GLOBAL__N_130modified_bessel_k0_kernel_cudaERNS_18TensorIteratorBaseEENKUlvE_clEvENKUlvE_clEvEUldE_j15function_traitsIS7_EEENT1_11result_typeERKT_PrKPcPKT0_PKN3c1010ScalarTypeEi@rel32@lo+4
	s_addc_u32 s1, s1, _ZN2at6native6invokeIZZZNS0_12_GLOBAL__N_130modified_bessel_k0_kernel_cudaERNS_18TensorIteratorBaseEENKUlvE_clEvENKUlvE_clEvEUldE_j15function_traitsIS7_EEENT1_11result_typeERKT_PrKPcPKT0_PKN3c1010ScalarTypeEi@rel32@hi+12
	s_delay_alu instid0(SALU_CYCLE_1) | instskip(SKIP_2) | instid1(VALU_DEP_1)
	s_swappc_b64 s[30:31], s[0:1]
	v_and_b32_e32 v6, 0xff, v31
	v_add_co_u32 v4, s0, s16, v29
	v_add_co_ci_u32_e64 v5, null, s17, 0, s0
	s_delay_alu instid0(VALU_DEP_3)
	v_cmp_gt_i16_e32 vcc_lo, 11, v6
	s_mov_b32 s2, 0
	s_mov_b32 s1, -1
	s_mov_b32 s0, s49
	s_cbranch_vccnz .LBB11_1098
; %bb.1024:
	v_cmp_lt_i16_e32 vcc_lo, 25, v6
	s_mov_b32 s0, s49
	s_cbranch_vccz .LBB11_1057
; %bb.1025:
	v_cmp_lt_i16_e32 vcc_lo, 28, v6
	s_mov_b32 s0, s49
	s_cbranch_vccz .LBB11_1041
	;; [unrolled: 4-line block ×4, first 2 shown]
; %bb.1028:
	v_cmp_eq_u16_e32 vcc_lo, 46, v6
	s_mov_b32 s0, -1
	s_cbranch_vccz .LBB11_1030
; %bb.1029:
	v_cvt_f32_f64_e32 v2, v[0:1]
	s_mov_b32 s0, 0
	s_delay_alu instid0(VALU_DEP_1) | instskip(SKIP_1) | instid1(VALU_DEP_2)
	v_bfe_u32 v3, v2, 16, 1
	v_cmp_o_f32_e32 vcc_lo, v2, v2
	v_add3_u32 v3, v2, v3, 0x7fff
	s_delay_alu instid0(VALU_DEP_1) | instskip(NEXT) | instid1(VALU_DEP_1)
	v_lshrrev_b32_e32 v3, 16, v3
	v_cndmask_b32_e32 v2, 0x7fc0, v3, vcc_lo
	global_store_b32 v[4:5], v2, off
.LBB11_1030:
	s_mov_b32 s1, 0
.LBB11_1031:
	s_delay_alu instid0(SALU_CYCLE_1)
	s_and_b32 vcc_lo, exec_lo, s1
	s_cbranch_vccz .LBB11_1036
; %bb.1032:
	v_cmp_eq_u16_e32 vcc_lo, 44, v6
	s_mov_b32 s0, -1
	s_cbranch_vccz .LBB11_1036
; %bb.1033:
	v_cvt_f32_f64_e32 v2, v[0:1]
	v_mov_b32_e32 v3, 0xff
	s_mov_b32 s1, exec_lo
	s_delay_alu instid0(VALU_DEP_2) | instskip(NEXT) | instid1(VALU_DEP_1)
	v_bfe_u32 v7, v2, 23, 8
	v_cmpx_ne_u32_e32 0xff, v7
; %bb.1034:
	v_and_b32_e32 v3, 0x400000, v2
	v_and_or_b32 v7, 0x3fffff, v2, v7
	v_lshrrev_b32_e32 v2, 23, v2
	s_delay_alu instid0(VALU_DEP_3) | instskip(NEXT) | instid1(VALU_DEP_3)
	v_cmp_ne_u32_e32 vcc_lo, 0, v3
	v_cmp_ne_u32_e64 s0, 0, v7
	s_delay_alu instid0(VALU_DEP_1) | instskip(NEXT) | instid1(SALU_CYCLE_1)
	s_and_b32 s0, vcc_lo, s0
	v_cndmask_b32_e64 v3, 0, 1, s0
	s_delay_alu instid0(VALU_DEP_1)
	v_add_nc_u32_e32 v3, v2, v3
; %bb.1035:
	s_or_b32 exec_lo, exec_lo, s1
	s_mov_b32 s0, 0
	global_store_b8 v[4:5], v3, off
.LBB11_1036:
	s_mov_b32 s1, 0
.LBB11_1037:
	s_delay_alu instid0(SALU_CYCLE_1)
	s_and_b32 vcc_lo, exec_lo, s1
	s_cbranch_vccz .LBB11_1040
; %bb.1038:
	v_cmp_eq_u16_e32 vcc_lo, 29, v6
	s_mov_b32 s0, -1
	s_cbranch_vccz .LBB11_1040
; %bb.1039:
	v_trunc_f64_e32 v[2:3], v[0:1]
	s_mov_b32 s0, 0
	s_delay_alu instid0(VALU_DEP_1) | instskip(NEXT) | instid1(VALU_DEP_1)
	v_ldexp_f64 v[7:8], v[2:3], 0xffffffe0
	v_floor_f64_e32 v[7:8], v[7:8]
	s_delay_alu instid0(VALU_DEP_1) | instskip(SKIP_1) | instid1(VALU_DEP_2)
	v_fma_f64 v[2:3], 0xc1f00000, v[7:8], v[2:3]
	v_cvt_u32_f64_e32 v8, v[7:8]
	v_cvt_u32_f64_e32 v7, v[2:3]
	global_store_b64 v[4:5], v[7:8], off
.LBB11_1040:
	s_mov_b32 s1, 0
.LBB11_1041:
	s_delay_alu instid0(SALU_CYCLE_1)
	s_and_b32 vcc_lo, exec_lo, s1
	s_cbranch_vccz .LBB11_1056
; %bb.1042:
	v_cmp_gt_i16_e32 vcc_lo, 27, v6
	s_mov_b32 s1, -1
	s_cbranch_vccnz .LBB11_1048
; %bb.1043:
	v_cmp_lt_i16_e32 vcc_lo, 27, v6
	s_cbranch_vccz .LBB11_1045
; %bb.1044:
	v_cvt_u32_f64_e32 v2, v[0:1]
	s_mov_b32 s1, 0
	global_store_b32 v[4:5], v2, off
.LBB11_1045:
	s_and_not1_b32 vcc_lo, exec_lo, s1
	s_cbranch_vccnz .LBB11_1047
; %bb.1046:
	v_cvt_u32_f64_e32 v2, v[0:1]
	global_store_b16 v[4:5], v2, off
.LBB11_1047:
	s_mov_b32 s1, 0
.LBB11_1048:
	s_delay_alu instid0(SALU_CYCLE_1)
	s_and_not1_b32 vcc_lo, exec_lo, s1
	s_cbranch_vccnz .LBB11_1056
; %bb.1049:
	v_cvt_f32_f64_e32 v2, v[0:1]
	v_mov_b32_e32 v7, 0x80
	s_mov_b32 s1, exec_lo
	s_delay_alu instid0(VALU_DEP_2) | instskip(NEXT) | instid1(VALU_DEP_1)
	v_and_b32_e32 v3, 0x7fffffff, v2
	v_cmpx_gt_u32_e32 0x43800000, v3
	s_cbranch_execz .LBB11_1055
; %bb.1050:
	v_cmp_lt_u32_e32 vcc_lo, 0x3bffffff, v3
                                        ; implicit-def: $vgpr3
	s_and_saveexec_b32 s3, vcc_lo
	s_delay_alu instid0(SALU_CYCLE_1)
	s_xor_b32 s3, exec_lo, s3
	s_cbranch_execz .LBB11_1118
; %bb.1051:
	v_bfe_u32 v3, v2, 20, 1
	s_mov_b32 s2, exec_lo
	s_delay_alu instid0(VALU_DEP_1) | instskip(NEXT) | instid1(VALU_DEP_1)
	v_add3_u32 v3, v2, v3, 0x487ffff
	v_lshrrev_b32_e32 v3, 20, v3
	s_or_saveexec_b32 s3, s3
                                        ; implicit-def: $sgpr4
	s_delay_alu instid0(SALU_CYCLE_1)
	s_xor_b32 exec_lo, exec_lo, s3
	s_cbranch_execnz .LBB11_1119
.LBB11_1052:
	s_or_b32 exec_lo, exec_lo, s3
	v_mov_b32_e32 v7, s4
	s_and_saveexec_b32 s3, s2
.LBB11_1053:
	v_lshrrev_b32_e32 v2, 24, v2
	s_delay_alu instid0(VALU_DEP_1)
	v_and_or_b32 v7, 0x80, v2, v3
.LBB11_1054:
	s_or_b32 exec_lo, exec_lo, s3
.LBB11_1055:
	s_delay_alu instid0(SALU_CYCLE_1)
	s_or_b32 exec_lo, exec_lo, s1
	global_store_b8 v[4:5], v7, off
.LBB11_1056:
	s_mov_b32 s1, 0
.LBB11_1057:
	s_delay_alu instid0(SALU_CYCLE_1)
	s_and_b32 vcc_lo, exec_lo, s1
	s_mov_b32 s1, 0
	s_cbranch_vccz .LBB11_1097
; %bb.1058:
	v_cmp_lt_i16_e32 vcc_lo, 22, v6
	s_mov_b32 s2, -1
	s_cbranch_vccz .LBB11_1090
; %bb.1059:
	v_cmp_gt_i16_e32 vcc_lo, 24, v6
	s_cbranch_vccnz .LBB11_1079
; %bb.1060:
	v_cmp_lt_i16_e32 vcc_lo, 24, v6
	s_cbranch_vccz .LBB11_1068
; %bb.1061:
	v_cvt_f32_f64_e32 v2, v[0:1]
	v_mov_b32_e32 v7, 0x80
	s_mov_b32 s2, exec_lo
	s_delay_alu instid0(VALU_DEP_2) | instskip(NEXT) | instid1(VALU_DEP_1)
	v_and_b32_e32 v3, 0x7fffffff, v2
	v_cmpx_gt_u32_e32 0x47800000, v3
	s_cbranch_execz .LBB11_1067
; %bb.1062:
	v_cmp_lt_u32_e32 vcc_lo, 0x37ffffff, v3
	s_mov_b32 s3, 0
                                        ; implicit-def: $vgpr3
	s_and_saveexec_b32 s4, vcc_lo
	s_delay_alu instid0(SALU_CYCLE_1)
	s_xor_b32 s4, exec_lo, s4
	s_cbranch_execz .LBB11_1124
; %bb.1063:
	v_bfe_u32 v3, v2, 21, 1
	s_mov_b32 s3, exec_lo
	s_delay_alu instid0(VALU_DEP_1) | instskip(NEXT) | instid1(VALU_DEP_1)
	v_add3_u32 v3, v2, v3, 0x88fffff
	v_lshrrev_b32_e32 v3, 21, v3
	s_or_saveexec_b32 s4, s4
                                        ; implicit-def: $sgpr5
	s_delay_alu instid0(SALU_CYCLE_1)
	s_xor_b32 exec_lo, exec_lo, s4
	s_cbranch_execnz .LBB11_1125
.LBB11_1064:
	s_or_b32 exec_lo, exec_lo, s4
	v_mov_b32_e32 v7, s5
	s_and_saveexec_b32 s4, s3
.LBB11_1065:
	v_lshrrev_b32_e32 v2, 24, v2
	s_delay_alu instid0(VALU_DEP_1)
	v_and_or_b32 v7, 0x80, v2, v3
.LBB11_1066:
	s_or_b32 exec_lo, exec_lo, s4
.LBB11_1067:
	s_delay_alu instid0(SALU_CYCLE_1)
	s_or_b32 exec_lo, exec_lo, s2
	s_mov_b32 s2, 0
	global_store_b8 v[4:5], v7, off
.LBB11_1068:
	s_and_b32 vcc_lo, exec_lo, s2
	s_cbranch_vccz .LBB11_1078
; %bb.1069:
	v_cvt_f32_f64_e32 v2, v[0:1]
	s_mov_b32 s2, exec_lo
                                        ; implicit-def: $vgpr3
	s_delay_alu instid0(VALU_DEP_1) | instskip(NEXT) | instid1(VALU_DEP_1)
	v_and_b32_e32 v7, 0x7fffffff, v2
	v_cmpx_gt_u32_e32 0x43f00000, v7
	s_xor_b32 s2, exec_lo, s2
	s_cbranch_execz .LBB11_1075
; %bb.1070:
	s_mov_b32 s3, exec_lo
                                        ; implicit-def: $vgpr3
	v_cmpx_lt_u32_e32 0x3c7fffff, v7
	s_xor_b32 s3, exec_lo, s3
; %bb.1071:
	v_bfe_u32 v3, v2, 20, 1
	s_delay_alu instid0(VALU_DEP_1) | instskip(NEXT) | instid1(VALU_DEP_1)
	v_add3_u32 v3, v2, v3, 0x407ffff
	v_and_b32_e32 v7, 0xff00000, v3
	v_lshrrev_b32_e32 v3, 20, v3
	s_delay_alu instid0(VALU_DEP_2) | instskip(NEXT) | instid1(VALU_DEP_2)
	v_cmp_ne_u32_e32 vcc_lo, 0x7f00000, v7
	v_cndmask_b32_e32 v3, 0x7e, v3, vcc_lo
; %bb.1072:
	s_and_not1_saveexec_b32 s3, s3
; %bb.1073:
	v_add_f32_e64 v3, 0x46800000, |v2|
; %bb.1074:
	s_or_b32 exec_lo, exec_lo, s3
                                        ; implicit-def: $vgpr7
.LBB11_1075:
	s_and_not1_saveexec_b32 s2, s2
; %bb.1076:
	v_mov_b32_e32 v3, 0x7f
	v_cmp_lt_u32_e32 vcc_lo, 0x7f800000, v7
	s_delay_alu instid0(VALU_DEP_2)
	v_cndmask_b32_e32 v3, 0x7e, v3, vcc_lo
; %bb.1077:
	s_or_b32 exec_lo, exec_lo, s2
	v_lshrrev_b32_e32 v2, 24, v2
	s_delay_alu instid0(VALU_DEP_1)
	v_and_or_b32 v2, 0x80, v2, v3
	global_store_b8 v[4:5], v2, off
.LBB11_1078:
	s_mov_b32 s2, 0
.LBB11_1079:
	s_delay_alu instid0(SALU_CYCLE_1)
	s_and_not1_b32 vcc_lo, exec_lo, s2
	s_cbranch_vccnz .LBB11_1089
; %bb.1080:
	v_cvt_f32_f64_e32 v2, v[0:1]
	s_mov_b32 s2, exec_lo
                                        ; implicit-def: $vgpr3
	s_delay_alu instid0(VALU_DEP_1) | instskip(NEXT) | instid1(VALU_DEP_1)
	v_and_b32_e32 v7, 0x7fffffff, v2
	v_cmpx_gt_u32_e32 0x47800000, v7
	s_xor_b32 s2, exec_lo, s2
	s_cbranch_execz .LBB11_1086
; %bb.1081:
	s_mov_b32 s3, exec_lo
                                        ; implicit-def: $vgpr3
	v_cmpx_lt_u32_e32 0x387fffff, v7
	s_xor_b32 s3, exec_lo, s3
; %bb.1082:
	v_bfe_u32 v3, v2, 21, 1
	s_delay_alu instid0(VALU_DEP_1) | instskip(NEXT) | instid1(VALU_DEP_1)
	v_add3_u32 v3, v2, v3, 0x80fffff
	v_lshrrev_b32_e32 v3, 21, v3
; %bb.1083:
	s_and_not1_saveexec_b32 s3, s3
; %bb.1084:
	v_add_f32_e64 v3, 0x43000000, |v2|
; %bb.1085:
	s_or_b32 exec_lo, exec_lo, s3
                                        ; implicit-def: $vgpr7
.LBB11_1086:
	s_and_not1_saveexec_b32 s2, s2
; %bb.1087:
	v_mov_b32_e32 v3, 0x7f
	v_cmp_lt_u32_e32 vcc_lo, 0x7f800000, v7
	s_delay_alu instid0(VALU_DEP_2)
	v_cndmask_b32_e32 v3, 0x7c, v3, vcc_lo
; %bb.1088:
	s_or_b32 exec_lo, exec_lo, s2
	v_lshrrev_b32_e32 v2, 24, v2
	s_delay_alu instid0(VALU_DEP_1)
	v_and_or_b32 v2, 0x80, v2, v3
	global_store_b8 v[4:5], v2, off
.LBB11_1089:
	s_mov_b32 s2, 0
.LBB11_1090:
	s_delay_alu instid0(SALU_CYCLE_1)
	s_and_not1_b32 vcc_lo, exec_lo, s2
	s_mov_b32 s2, 0
	s_cbranch_vccnz .LBB11_1098
; %bb.1091:
	v_cmp_lt_i16_e32 vcc_lo, 14, v6
	s_mov_b32 s2, -1
	s_cbranch_vccz .LBB11_1095
; %bb.1092:
	v_cmp_eq_u16_e32 vcc_lo, 15, v6
	s_mov_b32 s0, -1
	s_cbranch_vccz .LBB11_1094
; %bb.1093:
	v_cvt_f32_f64_e32 v2, v[0:1]
	s_mov_b32 s0, 0
	s_delay_alu instid0(VALU_DEP_1) | instskip(SKIP_1) | instid1(VALU_DEP_2)
	v_bfe_u32 v3, v2, 16, 1
	v_cmp_o_f32_e32 vcc_lo, v2, v2
	v_add3_u32 v3, v2, v3, 0x7fff
	s_delay_alu instid0(VALU_DEP_1) | instskip(NEXT) | instid1(VALU_DEP_1)
	v_lshrrev_b32_e32 v3, 16, v3
	v_cndmask_b32_e32 v2, 0x7fc0, v3, vcc_lo
	global_store_b16 v[4:5], v2, off
.LBB11_1094:
	s_mov_b32 s2, 0
.LBB11_1095:
	s_delay_alu instid0(SALU_CYCLE_1)
	s_and_b32 vcc_lo, exec_lo, s2
	s_mov_b32 s2, 0
	s_cbranch_vccz .LBB11_1098
; %bb.1096:
	v_cmp_ne_u16_e32 vcc_lo, 11, v6
	s_and_not1_b32 s0, s0, exec_lo
	s_mov_b32 s2, -1
	s_and_b32 s3, vcc_lo, exec_lo
	s_delay_alu instid0(SALU_CYCLE_1)
	s_or_b32 s0, s0, s3
	s_branch .LBB11_1098
.LBB11_1097:
	s_mov_b32 s2, 0
.LBB11_1098:
	s_and_not1_b32 s3, s49, exec_lo
	s_and_b32 s4, s0, exec_lo
	s_and_b32 s1, s1, exec_lo
	;; [unrolled: 1-line block ×3, first 2 shown]
	s_or_b32 s2, s3, s4
.LBB11_1099:
	s_or_b32 exec_lo, exec_lo, s41
	s_delay_alu instid0(SALU_CYCLE_1)
	s_and_not1_b32 s3, s49, exec_lo
	s_and_b32 s2, s2, exec_lo
	s_and_b32 s1, s1, exec_lo
	;; [unrolled: 1-line block ×3, first 2 shown]
	s_or_b32 s49, s3, s2
.LBB11_1100:
	s_or_b32 exec_lo, exec_lo, s48
	s_delay_alu instid0(SALU_CYCLE_1)
	s_and_not1_b32 s2, s46, exec_lo
	s_and_b32 s3, s49, exec_lo
	s_and_b32 s1, s1, exec_lo
	;; [unrolled: 1-line block ×3, first 2 shown]
	s_or_b32 s46, s2, s3
.LBB11_1101:
	s_or_b32 exec_lo, exec_lo, s47
	s_delay_alu instid0(SALU_CYCLE_1)
	s_and_not1_b32 s2, s44, exec_lo
	s_and_b32 s3, s46, exec_lo
	s_and_b32 s1, s1, exec_lo
	;; [unrolled: 1-line block ×3, first 2 shown]
	s_or_b32 s44, s2, s3
	s_or_b32 exec_lo, exec_lo, s45
	s_mov_b32 s0, 0
	s_and_saveexec_b32 s2, s44
	s_cbranch_execz .LBB11_142
.LBB11_1102:
	s_cbranch_execnz .LBB11_1104
; %bb.1103:
	s_mov_b32 s0, exec_lo
	s_and_not1_b32 s46, s46, exec_lo
	s_or_b32 exec_lo, exec_lo, s2
	s_and_saveexec_b32 s2, s46
	s_delay_alu instid0(SALU_CYCLE_1)
	s_xor_b32 s2, exec_lo, s2
	s_cbranch_execnz .LBB11_143
	s_branch .LBB11_144
.LBB11_1104:
	s_trap 2
	s_sendmsg_rtn_b32 s0, sendmsg(MSG_RTN_GET_DOORBELL)
	s_mov_b32 ttmp2, m0
	s_waitcnt lgkmcnt(0)
	s_and_b32 s0, s0, 0x3ff
	s_delay_alu instid0(SALU_CYCLE_1) | instskip(NEXT) | instid1(SALU_CYCLE_1)
	s_bitset1_b32 s0, 10
	s_mov_b32 m0, s0
	s_sendmsg sendmsg(MSG_INTERRUPT)
	s_mov_b32 m0, ttmp2
.LBB11_1105:                            ; =>This Inner Loop Header: Depth=1
	s_sethalt 5
	s_branch .LBB11_1105
.LBB11_1106:
	s_or_saveexec_b32 s3, s3
                                        ; implicit-def: $sgpr4
	s_delay_alu instid0(SALU_CYCLE_1)
	s_xor_b32 exec_lo, exec_lo, s3
	s_cbranch_execz .LBB11_957
.LBB11_1107:
	v_add_f32_e64 v3, 0x46000000, |v2|
	s_and_not1_b32 s2, s2, exec_lo
	s_mov_b32 s4, 0
	s_delay_alu instid0(VALU_DEP_1) | instskip(NEXT) | instid1(VALU_DEP_1)
	v_and_b32_e32 v3, 0xff, v3
	v_cmp_ne_u32_e32 vcc_lo, 0, v3
	s_and_b32 s5, vcc_lo, exec_lo
	s_delay_alu instid0(SALU_CYCLE_1)
	s_or_b32 s2, s2, s5
	s_or_b32 exec_lo, exec_lo, s3
	v_mov_b32_e32 v7, s4
	s_and_saveexec_b32 s3, s2
	s_cbranch_execnz .LBB11_958
	s_branch .LBB11_959
.LBB11_1108:
	s_or_saveexec_b32 s4, s4
                                        ; implicit-def: $sgpr5
	s_delay_alu instid0(SALU_CYCLE_1)
	s_xor_b32 exec_lo, exec_lo, s4
	s_cbranch_execz .LBB11_513
.LBB11_1109:
	v_add_f32_e64 v5, 0x42800000, |v4|
	s_and_not1_b32 s3, s3, exec_lo
	s_mov_b32 s5, 0
	s_delay_alu instid0(VALU_DEP_1) | instskip(NEXT) | instid1(VALU_DEP_1)
	v_and_b32_e32 v5, 0xff, v5
	v_cmp_ne_u32_e32 vcc_lo, 0, v5
	s_and_b32 s6, vcc_lo, exec_lo
	s_delay_alu instid0(SALU_CYCLE_1)
	s_or_b32 s3, s3, s6
	s_or_b32 exec_lo, exec_lo, s4
	v_mov_b32_e32 v7, s5
	s_and_saveexec_b32 s4, s3
	s_cbranch_execnz .LBB11_514
	s_branch .LBB11_515
.LBB11_1110:
	s_or_saveexec_b32 s5, s5
                                        ; implicit-def: $sgpr6
	s_delay_alu instid0(SALU_CYCLE_1)
	s_xor_b32 exec_lo, exec_lo, s5
	s_cbranch_execz .LBB11_619
.LBB11_1111:
	v_add_f32_e64 v3, 0x46000000, |v2|
	s_and_not1_b32 s4, s4, exec_lo
	s_mov_b32 s6, 0
	s_delay_alu instid0(VALU_DEP_1) | instskip(NEXT) | instid1(VALU_DEP_1)
	v_and_b32_e32 v3, 0xff, v3
	v_cmp_ne_u32_e32 vcc_lo, 0, v3
	s_and_b32 s7, vcc_lo, exec_lo
	s_delay_alu instid0(SALU_CYCLE_1)
	s_or_b32 s4, s4, s7
	s_or_b32 exec_lo, exec_lo, s5
	v_mov_b32_e32 v7, s6
	s_and_saveexec_b32 s5, s4
	s_cbranch_execnz .LBB11_620
	s_branch .LBB11_621
.LBB11_1112:
	s_trap 2
	s_sendmsg_rtn_b32 s0, sendmsg(MSG_RTN_GET_DOORBELL)
	s_mov_b32 ttmp2, m0
	s_waitcnt lgkmcnt(0)
	s_and_b32 s0, s0, 0x3ff
	s_delay_alu instid0(SALU_CYCLE_1) | instskip(NEXT) | instid1(SALU_CYCLE_1)
	s_bitset1_b32 s0, 10
	s_mov_b32 m0, s0
	s_sendmsg sendmsg(MSG_INTERRUPT)
	s_mov_b32 m0, ttmp2
.LBB11_1113:                            ; =>This Inner Loop Header: Depth=1
	s_sethalt 5
	s_branch .LBB11_1113
.LBB11_1114:
	s_cbranch_execnz .LBB11_1122
; %bb.1115:
	s_mov_b32 s2, 0
	s_or_b32 s1, s1, exec_lo
	s_branch .LBB11_665
.LBB11_1116:
	s_or_saveexec_b32 s3, s3
                                        ; implicit-def: $sgpr4
	s_delay_alu instid0(SALU_CYCLE_1)
	s_xor_b32 exec_lo, exec_lo, s3
	s_cbranch_execz .LBB11_970
.LBB11_1117:
	v_add_f32_e64 v3, 0x42800000, |v2|
	s_and_not1_b32 s2, s2, exec_lo
	s_mov_b32 s4, 0
	s_delay_alu instid0(VALU_DEP_1) | instskip(NEXT) | instid1(VALU_DEP_1)
	v_and_b32_e32 v3, 0xff, v3
	v_cmp_ne_u32_e32 vcc_lo, 0, v3
	s_and_b32 s5, vcc_lo, exec_lo
	s_delay_alu instid0(SALU_CYCLE_1)
	s_or_b32 s2, s2, s5
	s_or_b32 exec_lo, exec_lo, s3
	v_mov_b32_e32 v7, s4
	s_and_saveexec_b32 s3, s2
	s_cbranch_execnz .LBB11_971
	s_branch .LBB11_972
.LBB11_1118:
	s_or_saveexec_b32 s3, s3
                                        ; implicit-def: $sgpr4
	s_delay_alu instid0(SALU_CYCLE_1)
	s_xor_b32 exec_lo, exec_lo, s3
	s_cbranch_execz .LBB11_1052
.LBB11_1119:
	v_add_f32_e64 v3, 0x46000000, |v2|
	s_and_not1_b32 s2, s2, exec_lo
	s_mov_b32 s4, 0
	s_delay_alu instid0(VALU_DEP_1) | instskip(NEXT) | instid1(VALU_DEP_1)
	v_and_b32_e32 v3, 0xff, v3
	v_cmp_ne_u32_e32 vcc_lo, 0, v3
	s_and_b32 s5, vcc_lo, exec_lo
	s_delay_alu instid0(SALU_CYCLE_1)
	s_or_b32 s2, s2, s5
	s_or_b32 exec_lo, exec_lo, s3
	v_mov_b32_e32 v7, s4
	s_and_saveexec_b32 s3, s2
	s_cbranch_execnz .LBB11_1053
	s_branch .LBB11_1054
.LBB11_1120:
	s_or_saveexec_b32 s4, s4
                                        ; implicit-def: $sgpr5
	s_delay_alu instid0(SALU_CYCLE_1)
	s_xor_b32 exec_lo, exec_lo, s4
	s_cbranch_execz .LBB11_631
.LBB11_1121:
	v_add_f32_e64 v3, 0x42800000, |v2|
	s_and_not1_b32 s3, s3, exec_lo
	s_mov_b32 s5, 0
	s_delay_alu instid0(VALU_DEP_1) | instskip(NEXT) | instid1(VALU_DEP_1)
	v_and_b32_e32 v3, 0xff, v3
	v_cmp_ne_u32_e32 vcc_lo, 0, v3
	s_and_b32 s6, vcc_lo, exec_lo
	s_delay_alu instid0(SALU_CYCLE_1)
	s_or_b32 s3, s3, s6
	s_or_b32 exec_lo, exec_lo, s4
	v_mov_b32_e32 v7, s5
	s_and_saveexec_b32 s4, s3
	s_cbranch_execnz .LBB11_632
	s_branch .LBB11_633
.LBB11_1122:
	s_trap 2
	s_sendmsg_rtn_b32 s0, sendmsg(MSG_RTN_GET_DOORBELL)
	s_mov_b32 ttmp2, m0
	s_waitcnt lgkmcnt(0)
	s_and_b32 s0, s0, 0x3ff
	s_delay_alu instid0(SALU_CYCLE_1) | instskip(NEXT) | instid1(SALU_CYCLE_1)
	s_bitset1_b32 s0, 10
	s_mov_b32 m0, s0
	s_sendmsg sendmsg(MSG_INTERRUPT)
	s_mov_b32 m0, ttmp2
.LBB11_1123:                            ; =>This Inner Loop Header: Depth=1
	s_sethalt 5
	s_branch .LBB11_1123
.LBB11_1124:
	s_or_saveexec_b32 s4, s4
                                        ; implicit-def: $sgpr5
	s_delay_alu instid0(SALU_CYCLE_1)
	s_xor_b32 exec_lo, exec_lo, s4
	s_cbranch_execz .LBB11_1064
.LBB11_1125:
	v_add_f32_e64 v3, 0x42800000, |v2|
	s_and_not1_b32 s3, s3, exec_lo
	s_mov_b32 s5, 0
	s_delay_alu instid0(VALU_DEP_1) | instskip(NEXT) | instid1(VALU_DEP_1)
	v_and_b32_e32 v3, 0xff, v3
	v_cmp_ne_u32_e32 vcc_lo, 0, v3
	s_and_b32 s6, vcc_lo, exec_lo
	s_delay_alu instid0(SALU_CYCLE_1)
	s_or_b32 s3, s3, s6
	s_or_b32 exec_lo, exec_lo, s4
	v_mov_b32_e32 v7, s5
	s_and_saveexec_b32 s4, s3
	s_cbranch_execnz .LBB11_1065
	s_branch .LBB11_1066
	.section	.rodata,"a",@progbits
	.p2align	6, 0x0
	.amdhsa_kernel _ZN2at6native32elementwise_kernel_manual_unrollILi128ELi4EZNS0_15gpu_kernel_implIZZZNS0_12_GLOBAL__N_130modified_bessel_k0_kernel_cudaERNS_18TensorIteratorBaseEENKUlvE_clEvENKUlvE_clEvEUldE_EEvS5_RKT_EUlibE0_EEviT1_
		.amdhsa_group_segment_fixed_size 0
		.amdhsa_private_segment_fixed_size 0
		.amdhsa_kernarg_size 360
		.amdhsa_user_sgpr_count 15
		.amdhsa_user_sgpr_dispatch_ptr 0
		.amdhsa_user_sgpr_queue_ptr 0
		.amdhsa_user_sgpr_kernarg_segment_ptr 1
		.amdhsa_user_sgpr_dispatch_id 0
		.amdhsa_user_sgpr_private_segment_size 0
		.amdhsa_wavefront_size32 1
		.amdhsa_uses_dynamic_stack 0
		.amdhsa_enable_private_segment 0
		.amdhsa_system_sgpr_workgroup_id_x 1
		.amdhsa_system_sgpr_workgroup_id_y 0
		.amdhsa_system_sgpr_workgroup_id_z 0
		.amdhsa_system_sgpr_workgroup_info 0
		.amdhsa_system_vgpr_workitem_id 0
		.amdhsa_next_free_vgpr 40
		.amdhsa_next_free_sgpr 68
		.amdhsa_reserve_vcc 1
		.amdhsa_float_round_mode_32 0
		.amdhsa_float_round_mode_16_64 0
		.amdhsa_float_denorm_mode_32 3
		.amdhsa_float_denorm_mode_16_64 3
		.amdhsa_dx10_clamp 1
		.amdhsa_ieee_mode 1
		.amdhsa_fp16_overflow 0
		.amdhsa_workgroup_processor_mode 1
		.amdhsa_memory_ordered 1
		.amdhsa_forward_progress 0
		.amdhsa_shared_vgpr_count 0
		.amdhsa_exception_fp_ieee_invalid_op 0
		.amdhsa_exception_fp_denorm_src 0
		.amdhsa_exception_fp_ieee_div_zero 0
		.amdhsa_exception_fp_ieee_overflow 0
		.amdhsa_exception_fp_ieee_underflow 0
		.amdhsa_exception_fp_ieee_inexact 0
		.amdhsa_exception_int_div_zero 0
	.end_amdhsa_kernel
	.section	.text._ZN2at6native32elementwise_kernel_manual_unrollILi128ELi4EZNS0_15gpu_kernel_implIZZZNS0_12_GLOBAL__N_130modified_bessel_k0_kernel_cudaERNS_18TensorIteratorBaseEENKUlvE_clEvENKUlvE_clEvEUldE_EEvS5_RKT_EUlibE0_EEviT1_,"axG",@progbits,_ZN2at6native32elementwise_kernel_manual_unrollILi128ELi4EZNS0_15gpu_kernel_implIZZZNS0_12_GLOBAL__N_130modified_bessel_k0_kernel_cudaERNS_18TensorIteratorBaseEENKUlvE_clEvENKUlvE_clEvEUldE_EEvS5_RKT_EUlibE0_EEviT1_,comdat
.Lfunc_end11:
	.size	_ZN2at6native32elementwise_kernel_manual_unrollILi128ELi4EZNS0_15gpu_kernel_implIZZZNS0_12_GLOBAL__N_130modified_bessel_k0_kernel_cudaERNS_18TensorIteratorBaseEENKUlvE_clEvENKUlvE_clEvEUldE_EEvS5_RKT_EUlibE0_EEviT1_, .Lfunc_end11-_ZN2at6native32elementwise_kernel_manual_unrollILi128ELi4EZNS0_15gpu_kernel_implIZZZNS0_12_GLOBAL__N_130modified_bessel_k0_kernel_cudaERNS_18TensorIteratorBaseEENKUlvE_clEvENKUlvE_clEvEUldE_EEvS5_RKT_EUlibE0_EEviT1_
                                        ; -- End function
	.section	.AMDGPU.csdata,"",@progbits
; Kernel info:
; codeLenInByte = 24488
; NumSgprs: 70
; NumVgprs: 40
; ScratchSize: 0
; MemoryBound: 0
; FloatMode: 240
; IeeeMode: 1
; LDSByteSize: 0 bytes/workgroup (compile time only)
; SGPRBlocks: 8
; VGPRBlocks: 4
; NumSGPRsForWavesPerEU: 70
; NumVGPRsForWavesPerEU: 40
; Occupancy: 16
; WaveLimiterHint : 1
; COMPUTE_PGM_RSRC2:SCRATCH_EN: 0
; COMPUTE_PGM_RSRC2:USER_SGPR: 15
; COMPUTE_PGM_RSRC2:TRAP_HANDLER: 0
; COMPUTE_PGM_RSRC2:TGID_X_EN: 1
; COMPUTE_PGM_RSRC2:TGID_Y_EN: 0
; COMPUTE_PGM_RSRC2:TGID_Z_EN: 0
; COMPUTE_PGM_RSRC2:TIDIG_COMP_CNT: 0
	.text
	.p2align	2                               ; -- Begin function _ZN2at6native25elementwise_kernel_helperILb0EZZZNS0_12_GLOBAL__N_130modified_bessel_k0_kernel_cudaERNS_18TensorIteratorBaseEENKUlvE_clEvENKUlvE0_clEvEUlfE_NS0_6memory8policies11unroll_baseILi256ESt5arrayIPcLm2EE23TrivialOffsetCalculatorILi1EjESF_NS8_15LoadWithoutCastENS8_16StoreWithoutCastELi4ELi1EEEEEvT0_T1_
	.type	_ZN2at6native25elementwise_kernel_helperILb0EZZZNS0_12_GLOBAL__N_130modified_bessel_k0_kernel_cudaERNS_18TensorIteratorBaseEENKUlvE_clEvENKUlvE0_clEvEUlfE_NS0_6memory8policies11unroll_baseILi256ESt5arrayIPcLm2EE23TrivialOffsetCalculatorILi1EjESF_NS8_15LoadWithoutCastENS8_16StoreWithoutCastELi4ELi1EEEEEvT0_T1_,@function
_ZN2at6native25elementwise_kernel_helperILb0EZZZNS0_12_GLOBAL__N_130modified_bessel_k0_kernel_cudaERNS_18TensorIteratorBaseEENKUlvE_clEvENKUlvE0_clEvEUlfE_NS0_6memory8policies11unroll_baseILi256ESt5arrayIPcLm2EE23TrivialOffsetCalculatorILi1EjESF_NS8_15LoadWithoutCastENS8_16StoreWithoutCastELi4ELi1EEEEEvT0_T1_: ; @_ZN2at6native25elementwise_kernel_helperILb0EZZZNS0_12_GLOBAL__N_130modified_bessel_k0_kernel_cudaERNS_18TensorIteratorBaseEENKUlvE_clEvENKUlvE0_clEvEUlfE_NS0_6memory8policies11unroll_baseILi256ESt5arrayIPcLm2EE23TrivialOffsetCalculatorILi1EjESF_NS8_15LoadWithoutCastENS8_16StoreWithoutCastELi4ELi1EEEEEvT0_T1_
; %bb.0:
	s_waitcnt vmcnt(0) expcnt(0) lgkmcnt(0)
	v_dual_mov_b32 v14, 0 :: v_dual_and_b32 v11, 0x3ff, v31
	s_lshl_b32 s2, s12, 10
	v_mov_b32_e32 v15, 0
	s_delay_alu instid0(VALU_DEP_2) | instskip(SKIP_2) | instid1(VALU_DEP_3)
	v_cmp_lt_i32_e64 s0, v11, v4
	v_or_b32_e32 v9, s2, v11
	v_dual_mov_b32 v5, v11 :: v_dual_add_nc_u32 v12, 0x100, v11
	s_and_saveexec_b32 s1, s0
	s_cbranch_execz .LBB12_2
; %bb.1:
	v_mov_b32_e32 v10, 0
	s_delay_alu instid0(VALU_DEP_1) | instskip(NEXT) | instid1(VALU_DEP_1)
	v_lshlrev_b64 v[5:6], 2, v[9:10]
	v_add_co_u32 v5, vcc_lo, v2, v5
	s_delay_alu instid0(VALU_DEP_2)
	v_add_co_ci_u32_e32 v6, vcc_lo, v3, v6, vcc_lo
	flat_load_b32 v15, v[5:6]
	v_add_nc_u32_e32 v5, 0x100, v11
.LBB12_2:
	s_or_b32 exec_lo, exec_lo, s1
	s_delay_alu instid0(SALU_CYCLE_1) | instskip(NEXT) | instid1(VALU_DEP_1)
	s_mov_b32 s1, exec_lo
	v_cmpx_lt_i32_e64 v5, v4
	s_cbranch_execz .LBB12_4
; %bb.3:
	v_dual_mov_b32 v7, 0 :: v_dual_add_nc_u32 v6, s2, v5
	v_add_nc_u32_e32 v5, 0x100, v5
	s_delay_alu instid0(VALU_DEP_2) | instskip(NEXT) | instid1(VALU_DEP_1)
	v_lshlrev_b64 v[6:7], 2, v[6:7]
	v_add_co_u32 v6, vcc_lo, v2, v6
	s_delay_alu instid0(VALU_DEP_2)
	v_add_co_ci_u32_e32 v7, vcc_lo, v3, v7, vcc_lo
	flat_load_b32 v14, v[6:7]
.LBB12_4:
	s_or_b32 exec_lo, exec_lo, s1
	v_dual_mov_b32 v10, 0 :: v_dual_mov_b32 v13, 0
	s_mov_b32 s1, exec_lo
	v_cmpx_lt_i32_e64 v5, v4
	s_cbranch_execnz .LBB12_8
; %bb.5:
	s_or_b32 exec_lo, exec_lo, s1
	s_delay_alu instid0(SALU_CYCLE_1)
	s_mov_b32 s1, exec_lo
	v_cmpx_lt_i32_e64 v5, v4
	s_cbranch_execnz .LBB12_9
.LBB12_6:
	s_or_b32 exec_lo, exec_lo, s1
                                        ; implicit-def: $vgpr5_vgpr6_vgpr7_vgpr8
	s_and_saveexec_b32 s3, s0
	s_cbranch_execnz .LBB12_10
.LBB12_7:
	s_or_b32 exec_lo, exec_lo, s3
	s_delay_alu instid0(SALU_CYCLE_1)
	s_mov_b32 s3, exec_lo
	v_cmpx_lt_i32_e64 v12, v4
	s_cbranch_execnz .LBB12_23
	s_branch .LBB12_36
.LBB12_8:
	v_dual_mov_b32 v7, 0 :: v_dual_add_nc_u32 v6, s2, v5
	v_add_nc_u32_e32 v5, 0x100, v5
	s_delay_alu instid0(VALU_DEP_2) | instskip(NEXT) | instid1(VALU_DEP_1)
	v_lshlrev_b64 v[6:7], 2, v[6:7]
	v_add_co_u32 v6, vcc_lo, v2, v6
	s_delay_alu instid0(VALU_DEP_2) | instskip(SKIP_2) | instid1(SALU_CYCLE_1)
	v_add_co_ci_u32_e32 v7, vcc_lo, v3, v7, vcc_lo
	flat_load_b32 v13, v[6:7]
	s_or_b32 exec_lo, exec_lo, s1
	s_mov_b32 s1, exec_lo
	v_cmpx_lt_i32_e64 v5, v4
	s_cbranch_execz .LBB12_6
.LBB12_9:
	v_dual_mov_b32 v6, 0 :: v_dual_add_nc_u32 v5, s2, v5
	s_delay_alu instid0(VALU_DEP_1) | instskip(NEXT) | instid1(VALU_DEP_1)
	v_lshlrev_b64 v[5:6], 2, v[5:6]
	v_add_co_u32 v2, vcc_lo, v2, v5
	s_delay_alu instid0(VALU_DEP_2)
	v_add_co_ci_u32_e32 v3, vcc_lo, v3, v6, vcc_lo
	flat_load_b32 v10, v[2:3]
	s_or_b32 exec_lo, exec_lo, s1
                                        ; implicit-def: $vgpr5_vgpr6_vgpr7_vgpr8
	s_and_saveexec_b32 s3, s0
	s_cbranch_execz .LBB12_7
.LBB12_10:
	v_mov_b32_e32 v5, 0x7f800000
	s_mov_b32 s4, exec_lo
	s_waitcnt vmcnt(0) lgkmcnt(0)
	v_cmpx_neq_f32_e32 0, v15
	s_cbranch_execz .LBB12_22
; %bb.11:
	v_mov_b32_e32 v5, 0x7fc00000
	s_mov_b32 s5, exec_lo
	v_cmpx_ngt_f32_e32 0, v15
	s_cbranch_execz .LBB12_21
; %bb.12:
                                        ; implicit-def: $vgpr5
	s_mov_b32 s1, exec_lo
	v_cmpx_ge_f32_e32 2.0, v15
	s_xor_b32 s6, exec_lo, s1
	s_cbranch_execz .LBB12_18
; %bb.13:
	v_mul_f32_e32 v3, 0x3fb8aa3b, v15
	s_mov_b32 s1, exec_lo
                                        ; implicit-def: $vgpr2
	v_cmpx_ge_f32_e32 0x41000000, v15
	s_xor_b32 s1, exec_lo, s1
	s_cbranch_execz .LBB12_15
; %bb.14:
	v_fma_f32 v2, v15, 0.5, -2.0
	s_mov_b32 s7, 0xa2a2e5b9
	v_rndne_f32_e32 v7, v3
	v_fma_f32 v8, 0x3fb8aa3b, v15, -v3
	v_cmp_ngt_f32_e32 vcc_lo, 0xc2ce8ed0, v15
	v_fmaak_f32 v5, s7, v2, 0x24199b15
	s_delay_alu instid0(VALU_DEP_4) | instskip(NEXT) | instid1(VALU_DEP_4)
	v_sub_f32_e32 v3, v3, v7
	v_fmamk_f32 v8, v15, 0x32a5705f, v8
	v_cvt_i32_f32_e32 v7, v7
	s_delay_alu instid0(VALU_DEP_2) | instskip(NEXT) | instid1(VALU_DEP_1)
	v_dual_fmaak_f32 v6, v2, v5, 0x22a2e5b9 :: v_dual_add_f32 v3, v3, v8
	v_add_f32_e32 v6, 0xa58c275c, v6
	s_delay_alu instid0(VALU_DEP_2) | instskip(NEXT) | instid1(VALU_DEP_1)
	v_exp_f32_e32 v3, v3
	v_fma_f32 v5, v2, v6, -v5
	s_delay_alu instid0(VALU_DEP_1) | instskip(SKIP_3) | instid1(VALU_DEP_2)
	v_add_f32_e32 v5, 0x26f736c5, v5
	s_waitcnt_depctr 0xfff
	v_ldexp_f32 v3, v3, v7
	v_fma_f32 v6, v2, v5, -v6
	v_cndmask_b32_e32 v3, 0, v3, vcc_lo
	v_cmp_nlt_f32_e32 vcc_lo, 0x42b17218, v15
	s_delay_alu instid0(VALU_DEP_3) | instskip(NEXT) | instid1(VALU_DEP_3)
	v_add_f32_e32 v6, 0xa8528116, v6
	v_cndmask_b32_e32 v3, 0x7f800000, v3, vcc_lo
	s_delay_alu instid0(VALU_DEP_2) | instskip(NEXT) | instid1(VALU_DEP_1)
	v_fma_f32 v5, v2, v6, -v5
	v_add_f32_e32 v5, 0x29acda32, v5
	s_delay_alu instid0(VALU_DEP_1) | instskip(NEXT) | instid1(VALU_DEP_1)
	v_fma_f32 v6, v2, v5, -v6
	v_add_f32_e32 v6, 0xab08b263, v6
	s_delay_alu instid0(VALU_DEP_1) | instskip(NEXT) | instid1(VALU_DEP_1)
	;; [unrolled: 3-line block ×25, first 2 shown]
	v_sub_f32_e32 v2, v2, v5
	v_mul_f32_e32 v2, 0.5, v2
	s_delay_alu instid0(VALU_DEP_1)
	v_mul_f32_e32 v2, v3, v2
                                        ; implicit-def: $vgpr3
.LBB12_15:
	s_and_not1_saveexec_b32 s7, s1
	s_cbranch_execz .LBB12_17
; %bb.16:
	v_div_scale_f32 v2, null, v15, v15, 0x42000000
	v_div_scale_f32 v7, vcc_lo, 0x42000000, v15, 0x42000000
	s_mov_b32 s1, 0xa3056dbb
	s_delay_alu instid0(VALU_DEP_2) | instskip(SKIP_1) | instid1(VALU_DEP_1)
	v_rcp_f32_e32 v5, v2
	v_fma_f32 v16, 0x3fb8aa3b, v15, -v3
	v_fmamk_f32 v16, v15, 0x32a5705f, v16
	s_waitcnt_depctr 0xfff
	v_fma_f32 v6, -v2, v5, 1.0
	s_delay_alu instid0(VALU_DEP_1) | instskip(NEXT) | instid1(VALU_DEP_1)
	v_fmac_f32_e32 v5, v6, v5
	v_mul_f32_e32 v6, v7, v5
	s_delay_alu instid0(VALU_DEP_1) | instskip(NEXT) | instid1(VALU_DEP_1)
	v_fma_f32 v8, -v2, v6, v7
	v_fmac_f32_e32 v6, v8, v5
	v_rndne_f32_e32 v8, v3
	s_delay_alu instid0(VALU_DEP_2) | instskip(SKIP_1) | instid1(VALU_DEP_3)
	v_fma_f32 v2, -v2, v6, v7
	v_mul_f32_e32 v7, 0x4f800000, v15
	v_sub_f32_e32 v3, v3, v8
	v_cvt_i32_f32_e32 v8, v8
	s_delay_alu instid0(VALU_DEP_4) | instskip(SKIP_1) | instid1(VALU_DEP_4)
	v_div_fmas_f32 v2, v2, v5, v6
	v_cmp_gt_f32_e32 vcc_lo, 0xf800000, v15
	v_add_f32_e32 v3, v3, v16
	s_delay_alu instid0(VALU_DEP_3) | instskip(SKIP_1) | instid1(VALU_DEP_3)
	v_div_fixup_f32 v2, v2, v15, 0x42000000
	v_cndmask_b32_e32 v7, v15, v7, vcc_lo
	v_exp_f32_e32 v3, v3
	s_delay_alu instid0(VALU_DEP_2) | instskip(NEXT) | instid1(VALU_DEP_2)
	v_add_f32_e32 v2, -2.0, v2
	v_sqrt_f32_e32 v17, v7
	s_delay_alu instid0(VALU_DEP_1)
	v_fmaak_f32 v5, s1, v2, 0xa2b236d3
	s_waitcnt_depctr 0xfff
	v_ldexp_f32 v3, v3, v8
	v_fmaak_f32 v6, v2, v5, 0x23056dbb
	v_add_nc_u32_e32 v16, -1, v17
	v_add_nc_u32_e32 v18, 1, v17
	s_delay_alu instid0(VALU_DEP_3) | instskip(NEXT) | instid1(VALU_DEP_3)
	v_add_f32_e32 v6, 0x244df0c1, v6
	v_fma_f32 v19, -v16, v17, v7
	s_delay_alu instid0(VALU_DEP_3) | instskip(NEXT) | instid1(VALU_DEP_3)
	v_fma_f32 v20, -v18, v17, v7
	v_fma_f32 v5, v2, v6, -v5
	s_delay_alu instid0(VALU_DEP_3) | instskip(NEXT) | instid1(VALU_DEP_2)
	v_cmp_ge_f32_e64 s1, 0, v19
	v_add_f32_e32 v5, 0x241f9ee8, v5
	s_delay_alu instid0(VALU_DEP_2) | instskip(SKIP_1) | instid1(VALU_DEP_3)
	v_cndmask_b32_e64 v16, v17, v16, s1
	v_cmp_lt_f32_e64 s1, 0, v20
	v_fma_f32 v6, v2, v5, -v6
	s_delay_alu instid0(VALU_DEP_1) | instskip(NEXT) | instid1(VALU_DEP_1)
	v_add_f32_e32 v6, 0xa5a3005d, v6
	v_fma_f32 v5, v2, v6, -v5
	s_delay_alu instid0(VALU_DEP_1) | instskip(NEXT) | instid1(VALU_DEP_1)
	v_add_f32_e32 v5, 0xa5c5773f, v5
	;; [unrolled: 3-line block ×20, first 2 shown]
	v_fma_f32 v2, v2, v5, -v6
	v_cndmask_b32_e64 v5, v16, v18, s1
	v_cmp_ngt_f32_e64 s1, 0xc2ce8ed0, v15
	s_delay_alu instid0(VALU_DEP_3) | instskip(NEXT) | instid1(VALU_DEP_3)
	v_add_f32_e32 v2, 0x3f4df315, v2
	v_mul_f32_e32 v8, 0x37800000, v5
	s_delay_alu instid0(VALU_DEP_3) | instskip(SKIP_1) | instid1(VALU_DEP_3)
	v_cndmask_b32_e64 v3, 0, v3, s1
	v_cmp_nlt_f32_e64 s1, 0x42b17218, v15
	v_dual_sub_f32 v2, v2, v6 :: v_dual_cndmask_b32 v5, v5, v8
	v_cmp_class_f32_e64 vcc_lo, v7, 0x260
	s_delay_alu instid0(VALU_DEP_3) | instskip(NEXT) | instid1(VALU_DEP_3)
	v_cndmask_b32_e64 v3, 0x7f800000, v3, s1
	v_dual_mul_f32 v2, 0.5, v2 :: v_dual_cndmask_b32 v5, v5, v7
	s_delay_alu instid0(VALU_DEP_1) | instskip(NEXT) | instid1(VALU_DEP_1)
	v_mul_f32_e32 v2, v3, v2
	v_div_scale_f32 v3, null, v5, v5, v2
	s_delay_alu instid0(VALU_DEP_1) | instskip(SKIP_2) | instid1(VALU_DEP_1)
	v_rcp_f32_e32 v6, v3
	s_waitcnt_depctr 0xfff
	v_fma_f32 v7, -v3, v6, 1.0
	v_fmac_f32_e32 v6, v7, v6
	v_div_scale_f32 v7, vcc_lo, v2, v5, v2
	s_delay_alu instid0(VALU_DEP_1) | instskip(NEXT) | instid1(VALU_DEP_1)
	v_mul_f32_e32 v8, v7, v6
	v_fma_f32 v16, -v3, v8, v7
	s_delay_alu instid0(VALU_DEP_1) | instskip(NEXT) | instid1(VALU_DEP_1)
	v_fmac_f32_e32 v8, v16, v6
	v_fma_f32 v3, -v3, v8, v7
	s_delay_alu instid0(VALU_DEP_1) | instskip(NEXT) | instid1(VALU_DEP_1)
	v_div_fmas_f32 v3, v3, v6, v8
	v_div_fixup_f32 v2, v3, v5, v2
.LBB12_17:
	s_or_b32 exec_lo, exec_lo, s7
	v_cvt_f64_f32_e32 v[5:6], v15
	s_mov_b32 s9, 0x3fe55555
	s_mov_b32 s8, 0x55555555
	s_mov_b32 s1, 0x251e770f
	v_mov_b32_e32 v16, 0
	s_mov_b32 s10, 0x6b47b09a
	s_mov_b32 s12, 0xbf559e2b
	;; [unrolled: 1-line block ×4, first 2 shown]
	s_delay_alu instid0(VALU_DEP_2) | instskip(NEXT) | instid1(VALU_DEP_1)
	v_mul_f64 v[5:6], v[5:6], 0.5
	v_frexp_mant_f64_e32 v[7:8], v[5:6]
	v_frexp_exp_i32_f64_e32 v3, v[5:6]
	s_delay_alu instid0(VALU_DEP_2) | instskip(SKIP_2) | instid1(VALU_DEP_3)
	v_cmp_gt_f64_e32 vcc_lo, s[8:9], v[7:8]
	s_mov_b32 s8, 0x55555780
	v_cndmask_b32_e64 v17, 0x3ff00000, 2.0, vcc_lo
	v_subrev_co_ci_u32_e32 v3, vcc_lo, 0, v3, vcc_lo
	v_cmp_eq_f64_e32 vcc_lo, 0x7ff00000, v[5:6]
	s_delay_alu instid0(VALU_DEP_3) | instskip(NEXT) | instid1(VALU_DEP_1)
	v_mul_f64 v[7:8], v[7:8], v[16:17]
	v_add_f64 v[16:17], v[7:8], 1.0
	v_add_f64 v[22:23], v[7:8], -1.0
	s_delay_alu instid0(VALU_DEP_2) | instskip(SKIP_1) | instid1(VALU_DEP_1)
	v_rcp_f64_e32 v[18:19], v[16:17]
	v_add_f64 v[24:25], v[16:17], -1.0
	v_add_f64 v[7:8], v[7:8], -v[24:25]
	s_waitcnt_depctr 0xfff
	v_fma_f64 v[20:21], -v[16:17], v[18:19], 1.0
	s_delay_alu instid0(VALU_DEP_1) | instskip(NEXT) | instid1(VALU_DEP_1)
	v_fma_f64 v[18:19], v[20:21], v[18:19], v[18:19]
	v_fma_f64 v[20:21], -v[16:17], v[18:19], 1.0
	s_delay_alu instid0(VALU_DEP_1) | instskip(NEXT) | instid1(VALU_DEP_1)
	v_fma_f64 v[18:19], v[20:21], v[18:19], v[18:19]
	v_mul_f64 v[20:21], v[22:23], v[18:19]
	s_delay_alu instid0(VALU_DEP_1) | instskip(NEXT) | instid1(VALU_DEP_1)
	v_mul_f64 v[26:27], v[16:17], v[20:21]
	v_fma_f64 v[16:17], v[20:21], v[16:17], -v[26:27]
	s_delay_alu instid0(VALU_DEP_1) | instskip(NEXT) | instid1(VALU_DEP_1)
	v_fma_f64 v[7:8], v[20:21], v[7:8], v[16:17]
	v_add_f64 v[16:17], v[26:27], v[7:8]
	s_delay_alu instid0(VALU_DEP_1) | instskip(SKIP_1) | instid1(VALU_DEP_2)
	v_add_f64 v[24:25], v[22:23], -v[16:17]
	v_add_f64 v[26:27], v[16:17], -v[26:27]
	;; [unrolled: 1-line block ×3, first 2 shown]
	s_delay_alu instid0(VALU_DEP_2) | instskip(NEXT) | instid1(VALU_DEP_2)
	v_add_f64 v[7:8], v[26:27], -v[7:8]
	v_add_f64 v[16:17], v[22:23], -v[16:17]
	s_delay_alu instid0(VALU_DEP_1) | instskip(NEXT) | instid1(VALU_DEP_1)
	v_add_f64 v[7:8], v[7:8], v[16:17]
	v_add_f64 v[7:8], v[24:25], v[7:8]
	s_delay_alu instid0(VALU_DEP_1) | instskip(NEXT) | instid1(VALU_DEP_1)
	v_mul_f64 v[7:8], v[18:19], v[7:8]
	v_add_f64 v[16:17], v[20:21], v[7:8]
	s_delay_alu instid0(VALU_DEP_1) | instskip(NEXT) | instid1(VALU_DEP_1)
	v_mul_f64 v[18:19], v[16:17], v[16:17]
	v_fma_f64 v[22:23], v[18:19], s[12:13], s[10:11]
	s_mov_b32 s10, 0xd7f4df2e
	s_mov_b32 s11, 0x3fc7474d
	v_mul_f64 v[24:25], v[16:17], v[18:19]
	s_delay_alu instid0(VALU_DEP_2)
	v_fma_f64 v[22:23], v[18:19], v[22:23], s[10:11]
	s_mov_b32 s10, 0x16291751
	s_mov_b32 s11, 0x3fcc71c0
	s_delay_alu instid0(VALU_DEP_1) | instid1(SALU_CYCLE_1)
	v_fma_f64 v[22:23], v[18:19], v[22:23], s[10:11]
	s_mov_b32 s10, 0x9b27acf1
	s_mov_b32 s11, 0x3fd24924
	s_delay_alu instid0(VALU_DEP_1) | instid1(SALU_CYCLE_1)
	;; [unrolled: 4-line block ×3, first 2 shown]
	v_fma_f64 v[22:23], v[18:19], v[22:23], s[10:11]
	s_delay_alu instid0(VALU_DEP_1) | instskip(SKIP_4) | instid1(VALU_DEP_3)
	v_fma_f64 v[18:19], v[18:19], v[22:23], s[8:9]
	v_ldexp_f64 v[22:23], v[16:17], 1
	v_add_f64 v[16:17], v[16:17], -v[20:21]
	s_mov_b32 s8, 0xfefa39ef
	s_mov_b32 s9, 0x3fe62e42
	v_mul_f64 v[18:19], v[24:25], v[18:19]
	v_cvt_f64_i32_e32 v[24:25], v3
	s_delay_alu instid0(VALU_DEP_3) | instskip(SKIP_1) | instid1(VALU_DEP_1)
	v_add_f64 v[7:8], v[7:8], -v[16:17]
	v_fma_f32 v3, v15, v15, -2.0
	v_fmaak_f32 v15, s1, v3, 0x293fd856
	v_add_f64 v[20:21], v[22:23], v[18:19]
	v_mul_f64 v[26:27], v[24:25], s[8:9]
	v_ldexp_f64 v[7:8], v[7:8], 1
	s_delay_alu instid0(VALU_DEP_3) | instskip(NEXT) | instid1(VALU_DEP_3)
	v_add_f64 v[16:17], v[20:21], -v[22:23]
	v_fma_f64 v[22:23], v[24:25], s[8:9], -v[26:27]
	s_mov_b32 s8, 0x3b39803f
	s_mov_b32 s9, 0x3c7abc9e
	s_delay_alu instid0(VALU_DEP_2) | instskip(NEXT) | instid1(VALU_DEP_2)
	v_add_f64 v[16:17], v[18:19], -v[16:17]
	v_fma_f64 v[18:19], v[24:25], s[8:9], v[22:23]
	s_delay_alu instid0(VALU_DEP_2) | instskip(NEXT) | instid1(VALU_DEP_2)
	v_add_f64 v[7:8], v[7:8], v[16:17]
	v_add_f64 v[16:17], v[26:27], v[18:19]
	s_delay_alu instid0(VALU_DEP_2) | instskip(NEXT) | instid1(VALU_DEP_2)
	v_add_f64 v[22:23], v[20:21], v[7:8]
	v_add_f64 v[26:27], v[16:17], -v[26:27]
	s_delay_alu instid0(VALU_DEP_2) | instskip(SKIP_1) | instid1(VALU_DEP_3)
	v_add_f64 v[24:25], v[16:17], v[22:23]
	v_add_f64 v[20:21], v[22:23], -v[20:21]
	v_add_f64 v[18:19], v[18:19], -v[26:27]
	s_delay_alu instid0(VALU_DEP_3) | instskip(NEXT) | instid1(VALU_DEP_3)
	v_add_f64 v[28:29], v[24:25], -v[16:17]
	v_add_f64 v[7:8], v[7:8], -v[20:21]
	s_delay_alu instid0(VALU_DEP_2) | instskip(SKIP_1) | instid1(VALU_DEP_3)
	v_add_f64 v[30:31], v[24:25], -v[28:29]
	v_add_f64 v[20:21], v[22:23], -v[28:29]
	v_add_f64 v[22:23], v[18:19], v[7:8]
	s_delay_alu instid0(VALU_DEP_3) | instskip(NEXT) | instid1(VALU_DEP_1)
	v_add_f64 v[16:17], v[16:17], -v[30:31]
	v_add_f64 v[16:17], v[20:21], v[16:17]
	s_delay_alu instid0(VALU_DEP_3) | instskip(NEXT) | instid1(VALU_DEP_2)
	v_add_f64 v[20:21], v[22:23], -v[18:19]
	v_add_f64 v[16:17], v[22:23], v[16:17]
	s_delay_alu instid0(VALU_DEP_2) | instskip(SKIP_1) | instid1(VALU_DEP_3)
	v_add_f64 v[22:23], v[22:23], -v[20:21]
	v_add_f64 v[7:8], v[7:8], -v[20:21]
	v_add_f64 v[26:27], v[24:25], v[16:17]
	s_delay_alu instid0(VALU_DEP_3) | instskip(NEXT) | instid1(VALU_DEP_2)
	v_add_f64 v[18:19], v[18:19], -v[22:23]
	v_add_f64 v[20:21], v[26:27], -v[24:25]
	s_delay_alu instid0(VALU_DEP_2) | instskip(SKIP_1) | instid1(VALU_DEP_1)
	v_add_f64 v[7:8], v[7:8], v[18:19]
	v_fmaak_f32 v18, v3, v15, 0xa51e770f
	v_add_f32_e32 v18, 0x2d3612e2, v18
	s_delay_alu instid0(VALU_DEP_1) | instskip(SKIP_1) | instid1(VALU_DEP_1)
	v_fma_f32 v15, v3, v18, -v15
	v_add_f64 v[16:17], v[16:17], -v[20:21]
	v_add_f64 v[7:8], v[7:8], v[16:17]
	s_delay_alu instid0(VALU_DEP_1) | instskip(NEXT) | instid1(VALU_DEP_1)
	v_add_f64 v[7:8], v[26:27], v[7:8]
	v_dual_add_f32 v15, 0x3102e09b, v15 :: v_dual_cndmask_b32 v8, v8, v6
	s_delay_alu instid0(VALU_DEP_1) | instskip(NEXT) | instid1(VALU_DEP_3)
	v_fma_f32 v16, v3, v15, -v18
	v_cndmask_b32_e32 v7, v7, v5, vcc_lo
	v_cmp_neq_f64_e32 vcc_lo, 0, v[5:6]
	s_delay_alu instid0(VALU_DEP_3) | instskip(NEXT) | instid1(VALU_DEP_1)
	v_add_f32_e32 v16, 0x348815e7, v16
	v_fma_f32 v15, v3, v16, -v15
	s_delay_alu instid0(VALU_DEP_1) | instskip(NEXT) | instid1(VALU_DEP_1)
	v_add_f32_e32 v15, 0x37bfc808, v15
	v_fma_f32 v16, v3, v15, -v16
	s_delay_alu instid0(VALU_DEP_1) | instskip(NEXT) | instid1(VALU_DEP_1)
	;; [unrolled: 3-line block ×3, first 2 shown]
	v_add_f32_e32 v15, 0x3d135fb3, v15
	v_fma_f32 v16, v3, v15, -v16
	v_cndmask_b32_e32 v7, 0, v7, vcc_lo
	v_cndmask_b32_e32 v8, 0xfff00000, v8, vcc_lo
	s_delay_alu instid0(VALU_DEP_3) | instskip(NEXT) | instid1(VALU_DEP_1)
	v_add_f32_e32 v16, 0x3eb046c4, v16
	v_fma_f32 v3, v3, v16, -v15
	s_delay_alu instid0(VALU_DEP_1) | instskip(NEXT) | instid1(VALU_DEP_1)
	v_add_f32_e32 v3, 0xbf090b37, v3
	v_sub_f32_e32 v3, v3, v15
                                        ; implicit-def: $vgpr15
	s_delay_alu instid0(VALU_DEP_1) | instskip(NEXT) | instid1(VALU_DEP_1)
	v_mul_f32_e32 v3, 0.5, v3
	v_cvt_f64_f32_e32 v[5:6], v3
	v_cvt_f64_f32_e32 v[2:3], v2
	s_delay_alu instid0(VALU_DEP_1) | instskip(NEXT) | instid1(VALU_DEP_1)
	v_fma_f64 v[2:3], -v[7:8], v[2:3], v[5:6]
	v_cvt_f32_f64_e32 v5, v[2:3]
.LBB12_18:
	s_and_not1_saveexec_b32 s6, s6
	s_cbranch_execz .LBB12_20
; %bb.19:
	v_div_scale_f32 v2, null, v15, v15, 0x41000000
	v_div_scale_f32 v6, vcc_lo, 0x41000000, v15, 0x41000000
	s_mov_b32 s1, 0x22c38d2e
	s_delay_alu instid0(VALU_DEP_2) | instskip(SKIP_2) | instid1(VALU_DEP_1)
	v_rcp_f32_e32 v3, v2
	s_waitcnt_depctr 0xfff
	v_fma_f32 v5, -v2, v3, 1.0
	v_fmac_f32_e32 v3, v5, v3
	s_delay_alu instid0(VALU_DEP_1) | instskip(NEXT) | instid1(VALU_DEP_1)
	v_mul_f32_e32 v5, v6, v3
	v_fma_f32 v7, -v2, v5, v6
	s_delay_alu instid0(VALU_DEP_1) | instskip(SKIP_1) | instid1(VALU_DEP_2)
	v_fmac_f32_e32 v5, v7, v3
	v_mul_f32_e32 v7, 0xbfb8aa3b, v15
	v_fma_f32 v2, -v2, v5, v6
	s_delay_alu instid0(VALU_DEP_2) | instskip(SKIP_2) | instid1(VALU_DEP_4)
	v_rndne_f32_e32 v8, v7
	v_mul_f32_e32 v6, 0x4f800000, v15
	v_fma_f32 v16, 0xbfb8aa3b, v15, -v7
	v_div_fmas_f32 v2, v2, v3, v5
	s_delay_alu instid0(VALU_DEP_4) | instskip(SKIP_2) | instid1(VALU_DEP_4)
	v_sub_f32_e32 v7, v7, v8
	v_cmp_gt_f32_e32 vcc_lo, 0xf800000, v15
	v_cvt_i32_f32_e32 v8, v8
	v_div_fixup_f32 v2, v2, v15, 0x41000000
	v_cndmask_b32_e32 v6, v15, v6, vcc_lo
	v_fmamk_f32 v16, v15, 0xb2a5705f, v16
	s_delay_alu instid0(VALU_DEP_3) | instskip(NEXT) | instid1(VALU_DEP_3)
	v_add_f32_e32 v2, -2.0, v2
	v_sqrt_f32_e32 v17, v6
	s_waitcnt_depctr 0xfff
	v_dual_fmaak_f32 v3, s1, v2, 0xa397f665 :: v_dual_add_nc_u32 v18, 1, v17
	s_delay_alu instid0(VALU_DEP_1) | instskip(NEXT) | instid1(VALU_DEP_2)
	v_fmaak_f32 v5, v2, v3, 0xa2c38d2e
	v_fma_f32 v20, -v18, v17, v6
	s_delay_alu instid0(VALU_DEP_2) | instskip(NEXT) | instid1(VALU_DEP_1)
	v_add_f32_e32 v5, 0x24704972, v5
	v_fma_f32 v3, v2, v5, -v3
	s_delay_alu instid0(VALU_DEP_1) | instskip(NEXT) | instid1(VALU_DEP_1)
	v_add_f32_e32 v3, 0xa5417ca4, v3
	v_fma_f32 v5, v2, v3, -v5
	s_delay_alu instid0(VALU_DEP_1) | instskip(NEXT) | instid1(VALU_DEP_1)
	;; [unrolled: 3-line block ×21, first 2 shown]
	v_add_f32_e32 v3, 0xbd00cfb9, v3
	v_fma_f32 v2, v2, v3, -v5
	v_dual_add_f32 v7, v7, v16 :: v_dual_add_nc_u32 v16, -1, v17
	s_delay_alu instid0(VALU_DEP_2) | instskip(NEXT) | instid1(VALU_DEP_2)
	v_add_f32_e32 v2, 0x401c2ded, v2
	v_exp_f32_e32 v7, v7
	s_delay_alu instid0(VALU_DEP_2) | instskip(NEXT) | instid1(VALU_DEP_2)
	v_fma_f32 v19, -v16, v17, v6
	v_sub_f32_e32 v2, v2, v5
	s_delay_alu instid0(VALU_DEP_2) | instskip(NEXT) | instid1(VALU_DEP_2)
	v_cmp_ge_f32_e64 s1, 0, v19
	v_mul_f32_e32 v2, 0.5, v2
	s_waitcnt_depctr 0xfff
	v_ldexp_f32 v3, v7, v8
	v_cndmask_b32_e64 v16, v17, v16, s1
	v_cmp_lt_f32_e64 s1, 0, v20
	s_delay_alu instid0(VALU_DEP_1) | instskip(SKIP_1) | instid1(VALU_DEP_2)
	v_cndmask_b32_e64 v7, v16, v18, s1
	v_cmp_nlt_f32_e64 s1, 0x42ce8ed0, v15
	v_mul_f32_e32 v8, 0x37800000, v7
	s_delay_alu instid0(VALU_DEP_2) | instskip(SKIP_1) | instid1(VALU_DEP_3)
	v_cndmask_b32_e64 v3, 0, v3, s1
	v_cmp_ngt_f32_e64 s1, 0xc2b17218, v15
	v_cndmask_b32_e32 v5, v7, v8, vcc_lo
	v_cmp_class_f32_e64 vcc_lo, v6, 0x260
	s_delay_alu instid0(VALU_DEP_3) | instskip(NEXT) | instid1(VALU_DEP_3)
	v_cndmask_b32_e64 v3, 0x7f800000, v3, s1
	v_cndmask_b32_e32 v5, v5, v6, vcc_lo
	s_delay_alu instid0(VALU_DEP_2) | instskip(NEXT) | instid1(VALU_DEP_1)
	v_mul_f32_e32 v2, v3, v2
	v_div_scale_f32 v3, null, v5, v5, v2
	s_delay_alu instid0(VALU_DEP_1) | instskip(SKIP_2) | instid1(VALU_DEP_1)
	v_rcp_f32_e32 v6, v3
	s_waitcnt_depctr 0xfff
	v_fma_f32 v7, -v3, v6, 1.0
	v_fmac_f32_e32 v6, v7, v6
	v_div_scale_f32 v7, vcc_lo, v2, v5, v2
	s_delay_alu instid0(VALU_DEP_1) | instskip(NEXT) | instid1(VALU_DEP_1)
	v_mul_f32_e32 v8, v7, v6
	v_fma_f32 v15, -v3, v8, v7
	s_delay_alu instid0(VALU_DEP_1) | instskip(NEXT) | instid1(VALU_DEP_1)
	v_fmac_f32_e32 v8, v15, v6
	v_fma_f32 v3, -v3, v8, v7
	s_delay_alu instid0(VALU_DEP_1) | instskip(NEXT) | instid1(VALU_DEP_1)
	v_div_fmas_f32 v3, v3, v6, v8
	v_div_fixup_f32 v5, v3, v5, v2
.LBB12_20:
	s_or_b32 exec_lo, exec_lo, s6
.LBB12_21:
	s_delay_alu instid0(SALU_CYCLE_1)
	s_or_b32 exec_lo, exec_lo, s5
.LBB12_22:
	s_delay_alu instid0(SALU_CYCLE_1) | instskip(NEXT) | instid1(SALU_CYCLE_1)
	s_or_b32 exec_lo, exec_lo, s4
	s_or_b32 exec_lo, exec_lo, s3
	s_delay_alu instid0(SALU_CYCLE_1)
	s_mov_b32 s3, exec_lo
	v_cmpx_lt_i32_e64 v12, v4
	s_cbranch_execz .LBB12_36
.LBB12_23:
	v_mov_b32_e32 v6, 0x7f800000
	s_mov_b32 s4, exec_lo
	s_waitcnt vmcnt(0) lgkmcnt(0)
	v_cmpx_neq_f32_e32 0, v14
	s_cbranch_execz .LBB12_35
; %bb.24:
	v_mov_b32_e32 v6, 0x7fc00000
	s_mov_b32 s5, exec_lo
	v_cmpx_ngt_f32_e32 0, v14
	s_cbranch_execz .LBB12_34
; %bb.25:
	s_mov_b32 s1, exec_lo
	v_cmpx_ge_f32_e32 2.0, v14
	s_xor_b32 s6, exec_lo, s1
	s_cbranch_execz .LBB12_31
; %bb.26:
	v_mul_f32_e32 v3, 0x3fb8aa3b, v14
	s_mov_b32 s1, exec_lo
                                        ; implicit-def: $vgpr2
	v_cmpx_ge_f32_e32 0x41000000, v14
	s_xor_b32 s1, exec_lo, s1
	s_cbranch_execz .LBB12_28
; %bb.27:
	v_fma_f32 v2, v14, 0.5, -2.0
	s_mov_b32 s7, 0xa2a2e5b9
	v_rndne_f32_e32 v16, v3
	v_fma_f32 v17, 0x3fb8aa3b, v14, -v3
	v_cmp_ngt_f32_e32 vcc_lo, 0xc2ce8ed0, v14
	s_delay_alu instid0(VALU_DEP_3) | instskip(NEXT) | instid1(VALU_DEP_3)
	v_dual_fmaak_f32 v6, s7, v2, 0x24199b15 :: v_dual_sub_f32 v3, v3, v16
	v_fmamk_f32 v17, v14, 0x32a5705f, v17
	v_cvt_i32_f32_e32 v16, v16
	s_delay_alu instid0(VALU_DEP_3) | instskip(NEXT) | instid1(VALU_DEP_3)
	v_fmaak_f32 v15, v2, v6, 0x22a2e5b9
	v_add_f32_e32 v3, v3, v17
	s_delay_alu instid0(VALU_DEP_2) | instskip(NEXT) | instid1(VALU_DEP_2)
	v_add_f32_e32 v15, 0xa58c275c, v15
	v_exp_f32_e32 v3, v3
	s_delay_alu instid0(VALU_DEP_1) | instskip(NEXT) | instid1(VALU_DEP_1)
	v_fma_f32 v6, v2, v15, -v6
	v_add_f32_e32 v6, 0x26f736c5, v6
	s_waitcnt_depctr 0xfff
	v_ldexp_f32 v3, v3, v16
	v_fma_f32 v15, v2, v6, -v15
	s_delay_alu instid0(VALU_DEP_2) | instskip(SKIP_1) | instid1(VALU_DEP_3)
	v_cndmask_b32_e32 v3, 0, v3, vcc_lo
	v_cmp_nlt_f32_e32 vcc_lo, 0x42b17218, v14
	v_add_f32_e32 v15, 0xa8528116, v15
	s_delay_alu instid0(VALU_DEP_3) | instskip(NEXT) | instid1(VALU_DEP_2)
	v_cndmask_b32_e32 v3, 0x7f800000, v3, vcc_lo
	v_fma_f32 v6, v2, v15, -v6
	s_delay_alu instid0(VALU_DEP_1) | instskip(NEXT) | instid1(VALU_DEP_1)
	v_add_f32_e32 v6, 0x29acda32, v6
	v_fma_f32 v15, v2, v6, -v15
	s_delay_alu instid0(VALU_DEP_1) | instskip(NEXT) | instid1(VALU_DEP_1)
	v_add_f32_e32 v15, 0xab08b263, v15
	;; [unrolled: 3-line block ×25, first 2 shown]
	v_sub_f32_e32 v2, v2, v6
	s_delay_alu instid0(VALU_DEP_1) | instskip(NEXT) | instid1(VALU_DEP_1)
	v_mul_f32_e32 v2, 0.5, v2
	v_mul_f32_e32 v2, v3, v2
                                        ; implicit-def: $vgpr3
.LBB12_28:
	s_and_not1_saveexec_b32 s7, s1
	s_cbranch_execz .LBB12_30
; %bb.29:
	v_div_scale_f32 v2, null, v14, v14, 0x42000000
	v_div_scale_f32 v16, vcc_lo, 0x42000000, v14, 0x42000000
	v_fma_f32 v18, 0x3fb8aa3b, v14, -v3
	s_delay_alu instid0(VALU_DEP_3) | instskip(SKIP_1) | instid1(VALU_DEP_1)
	v_rcp_f32_e32 v6, v2
	s_mov_b32 s1, 0xa3056dbb
	v_fmamk_f32 v18, v14, 0x32a5705f, v18
	s_waitcnt_depctr 0xfff
	v_fma_f32 v15, -v2, v6, 1.0
	s_delay_alu instid0(VALU_DEP_1) | instskip(NEXT) | instid1(VALU_DEP_1)
	v_fmac_f32_e32 v6, v15, v6
	v_mul_f32_e32 v15, v16, v6
	s_delay_alu instid0(VALU_DEP_1) | instskip(NEXT) | instid1(VALU_DEP_1)
	v_fma_f32 v17, -v2, v15, v16
	v_fmac_f32_e32 v15, v17, v6
	v_rndne_f32_e32 v17, v3
	s_delay_alu instid0(VALU_DEP_2) | instskip(NEXT) | instid1(VALU_DEP_2)
	v_fma_f32 v2, -v2, v15, v16
	v_dual_mul_f32 v16, 0x4f800000, v14 :: v_dual_sub_f32 v3, v3, v17
	v_cvt_i32_f32_e32 v17, v17
	s_delay_alu instid0(VALU_DEP_3) | instskip(SKIP_1) | instid1(VALU_DEP_2)
	v_div_fmas_f32 v2, v2, v6, v15
	v_cmp_gt_f32_e32 vcc_lo, 0xf800000, v14
	v_div_fixup_f32 v2, v2, v14, 0x42000000
	v_cndmask_b32_e32 v16, v14, v16, vcc_lo
	s_delay_alu instid0(VALU_DEP_2) | instskip(NEXT) | instid1(VALU_DEP_2)
	v_add_f32_e32 v2, -2.0, v2
	v_sqrt_f32_e32 v19, v16
	v_add_f32_e32 v3, v3, v18
	s_delay_alu instid0(VALU_DEP_2) | instskip(SKIP_4) | instid1(VALU_DEP_2)
	v_fmaak_f32 v6, s1, v2, 0xa2b236d3
	s_waitcnt_depctr 0xfff
	v_dual_fmaak_f32 v15, v2, v6, 0x23056dbb :: v_dual_add_nc_u32 v18, -1, v19
	v_add_nc_u32_e32 v20, 1, v19
	v_exp_f32_e32 v3, v3
	v_add_f32_e32 v15, 0x244df0c1, v15
	s_delay_alu instid0(VALU_DEP_3) | instskip(NEXT) | instid1(VALU_DEP_3)
	v_fma_f32 v21, -v18, v19, v16
	v_fma_f32 v22, -v20, v19, v16
	s_delay_alu instid0(VALU_DEP_3) | instskip(NEXT) | instid1(VALU_DEP_3)
	v_fma_f32 v6, v2, v15, -v6
	v_cmp_ge_f32_e64 s1, 0, v21
	s_waitcnt_depctr 0xfff
	v_ldexp_f32 v3, v3, v17
	v_add_f32_e32 v6, 0x241f9ee8, v6
	v_cndmask_b32_e64 v18, v19, v18, s1
	v_cmp_lt_f32_e64 s1, 0, v22
	s_delay_alu instid0(VALU_DEP_3) | instskip(NEXT) | instid1(VALU_DEP_1)
	v_fma_f32 v15, v2, v6, -v15
	v_add_f32_e32 v15, 0xa5a3005d, v15
	s_delay_alu instid0(VALU_DEP_1) | instskip(NEXT) | instid1(VALU_DEP_1)
	v_fma_f32 v6, v2, v15, -v6
	v_add_f32_e32 v6, 0xa5c5773f, v6
	s_delay_alu instid0(VALU_DEP_1) | instskip(NEXT) | instid1(VALU_DEP_1)
	;; [unrolled: 3-line block ×19, first 2 shown]
	v_fma_f32 v6, v2, v15, -v6
	v_add_f32_e32 v6, 0x3b5ccc65, v6
	s_delay_alu instid0(VALU_DEP_1) | instskip(SKIP_2) | instid1(VALU_DEP_3)
	v_fma_f32 v2, v2, v6, -v15
	v_cndmask_b32_e64 v6, v18, v20, s1
	v_cmp_ngt_f32_e64 s1, 0xc2ce8ed0, v14
	v_add_f32_e32 v2, 0x3f4df315, v2
	s_delay_alu instid0(VALU_DEP_3) | instskip(NEXT) | instid1(VALU_DEP_3)
	v_mul_f32_e32 v17, 0x37800000, v6
	v_cndmask_b32_e64 v3, 0, v3, s1
	v_cmp_nlt_f32_e64 s1, 0x42b17218, v14
	s_delay_alu instid0(VALU_DEP_4) | instskip(NEXT) | instid1(VALU_DEP_4)
	v_sub_f32_e32 v2, v2, v15
	v_cndmask_b32_e32 v6, v6, v17, vcc_lo
	v_cmp_class_f32_e64 vcc_lo, v16, 0x260
	s_delay_alu instid0(VALU_DEP_4) | instskip(NEXT) | instid1(VALU_DEP_4)
	v_cndmask_b32_e64 v3, 0x7f800000, v3, s1
	v_mul_f32_e32 v2, 0.5, v2
	s_delay_alu instid0(VALU_DEP_4) | instskip(NEXT) | instid1(VALU_DEP_2)
	v_cndmask_b32_e32 v6, v6, v16, vcc_lo
	v_mul_f32_e32 v2, v3, v2
	s_delay_alu instid0(VALU_DEP_1) | instskip(NEXT) | instid1(VALU_DEP_1)
	v_div_scale_f32 v3, null, v6, v6, v2
	v_rcp_f32_e32 v15, v3
	s_waitcnt_depctr 0xfff
	v_fma_f32 v16, -v3, v15, 1.0
	s_delay_alu instid0(VALU_DEP_1) | instskip(SKIP_1) | instid1(VALU_DEP_1)
	v_fmac_f32_e32 v15, v16, v15
	v_div_scale_f32 v16, vcc_lo, v2, v6, v2
	v_mul_f32_e32 v17, v16, v15
	s_delay_alu instid0(VALU_DEP_1) | instskip(NEXT) | instid1(VALU_DEP_1)
	v_fma_f32 v18, -v3, v17, v16
	v_fmac_f32_e32 v17, v18, v15
	s_delay_alu instid0(VALU_DEP_1) | instskip(NEXT) | instid1(VALU_DEP_1)
	v_fma_f32 v3, -v3, v17, v16
	v_div_fmas_f32 v3, v3, v15, v17
	s_delay_alu instid0(VALU_DEP_1)
	v_div_fixup_f32 v2, v3, v6, v2
.LBB12_30:
	s_or_b32 exec_lo, exec_lo, s7
	v_cvt_f64_f32_e32 v[15:16], v14
	s_mov_b32 s9, 0x3fe55555
	s_mov_b32 s8, 0x55555555
	;; [unrolled: 1-line block ×3, first 2 shown]
	v_mov_b32_e32 v19, 0
	s_mov_b32 s10, 0x6b47b09a
	s_mov_b32 s12, 0xbf559e2b
	;; [unrolled: 1-line block ×4, first 2 shown]
	s_delay_alu instid0(VALU_DEP_2) | instskip(NEXT) | instid1(VALU_DEP_1)
	v_mul_f64 v[15:16], v[15:16], 0.5
	v_frexp_mant_f64_e32 v[17:18], v[15:16]
	v_frexp_exp_i32_f64_e32 v3, v[15:16]
	s_delay_alu instid0(VALU_DEP_2) | instskip(SKIP_2) | instid1(VALU_DEP_3)
	v_cmp_gt_f64_e32 vcc_lo, s[8:9], v[17:18]
	s_mov_b32 s8, 0x55555780
	v_cndmask_b32_e64 v20, 0x3ff00000, 2.0, vcc_lo
	v_subrev_co_ci_u32_e32 v3, vcc_lo, 0, v3, vcc_lo
	v_cmp_eq_f64_e32 vcc_lo, 0x7ff00000, v[15:16]
	s_delay_alu instid0(VALU_DEP_3) | instskip(NEXT) | instid1(VALU_DEP_1)
	v_mul_f64 v[17:18], v[17:18], v[19:20]
	v_add_f64 v[19:20], v[17:18], 1.0
	v_add_f64 v[25:26], v[17:18], -1.0
	s_delay_alu instid0(VALU_DEP_2) | instskip(SKIP_1) | instid1(VALU_DEP_1)
	v_rcp_f64_e32 v[21:22], v[19:20]
	v_add_f64 v[27:28], v[19:20], -1.0
	v_add_f64 v[17:18], v[17:18], -v[27:28]
	s_waitcnt_depctr 0xfff
	v_fma_f64 v[23:24], -v[19:20], v[21:22], 1.0
	s_delay_alu instid0(VALU_DEP_1) | instskip(NEXT) | instid1(VALU_DEP_1)
	v_fma_f64 v[21:22], v[23:24], v[21:22], v[21:22]
	v_fma_f64 v[23:24], -v[19:20], v[21:22], 1.0
	s_delay_alu instid0(VALU_DEP_1) | instskip(NEXT) | instid1(VALU_DEP_1)
	v_fma_f64 v[21:22], v[23:24], v[21:22], v[21:22]
	v_mul_f64 v[23:24], v[25:26], v[21:22]
	s_delay_alu instid0(VALU_DEP_1) | instskip(NEXT) | instid1(VALU_DEP_1)
	v_mul_f64 v[29:30], v[19:20], v[23:24]
	v_fma_f64 v[19:20], v[23:24], v[19:20], -v[29:30]
	s_delay_alu instid0(VALU_DEP_1) | instskip(NEXT) | instid1(VALU_DEP_1)
	v_fma_f64 v[17:18], v[23:24], v[17:18], v[19:20]
	v_add_f64 v[19:20], v[29:30], v[17:18]
	s_delay_alu instid0(VALU_DEP_1) | instskip(SKIP_1) | instid1(VALU_DEP_2)
	v_add_f64 v[27:28], v[25:26], -v[19:20]
	v_add_f64 v[29:30], v[19:20], -v[29:30]
	;; [unrolled: 1-line block ×3, first 2 shown]
	s_delay_alu instid0(VALU_DEP_2) | instskip(NEXT) | instid1(VALU_DEP_2)
	v_add_f64 v[17:18], v[29:30], -v[17:18]
	v_add_f64 v[19:20], v[25:26], -v[19:20]
	s_delay_alu instid0(VALU_DEP_1) | instskip(NEXT) | instid1(VALU_DEP_1)
	v_add_f64 v[17:18], v[17:18], v[19:20]
	v_add_f64 v[17:18], v[27:28], v[17:18]
	s_delay_alu instid0(VALU_DEP_1) | instskip(NEXT) | instid1(VALU_DEP_1)
	v_mul_f64 v[17:18], v[21:22], v[17:18]
	v_add_f64 v[19:20], v[23:24], v[17:18]
	s_delay_alu instid0(VALU_DEP_1) | instskip(NEXT) | instid1(VALU_DEP_1)
	v_mul_f64 v[21:22], v[19:20], v[19:20]
	v_fma_f64 v[25:26], v[21:22], s[12:13], s[10:11]
	s_mov_b32 s10, 0xd7f4df2e
	s_mov_b32 s11, 0x3fc7474d
	v_mul_f64 v[27:28], v[19:20], v[21:22]
	s_delay_alu instid0(VALU_DEP_2)
	v_fma_f64 v[25:26], v[21:22], v[25:26], s[10:11]
	s_mov_b32 s10, 0x16291751
	s_mov_b32 s11, 0x3fcc71c0
	s_delay_alu instid0(VALU_DEP_1) | instid1(SALU_CYCLE_1)
	v_fma_f64 v[25:26], v[21:22], v[25:26], s[10:11]
	s_mov_b32 s10, 0x9b27acf1
	s_mov_b32 s11, 0x3fd24924
	s_delay_alu instid0(VALU_DEP_1) | instid1(SALU_CYCLE_1)
	;; [unrolled: 4-line block ×3, first 2 shown]
	v_fma_f64 v[25:26], v[21:22], v[25:26], s[10:11]
	s_delay_alu instid0(VALU_DEP_1) | instskip(SKIP_4) | instid1(VALU_DEP_3)
	v_fma_f64 v[21:22], v[21:22], v[25:26], s[8:9]
	v_ldexp_f64 v[25:26], v[19:20], 1
	v_add_f64 v[19:20], v[19:20], -v[23:24]
	s_mov_b32 s8, 0xfefa39ef
	s_mov_b32 s9, 0x3fe62e42
	v_mul_f64 v[21:22], v[27:28], v[21:22]
	v_cvt_f64_i32_e32 v[27:28], v3
	s_delay_alu instid0(VALU_DEP_3) | instskip(SKIP_1) | instid1(VALU_DEP_1)
	v_add_f64 v[17:18], v[17:18], -v[19:20]
	v_fma_f32 v3, v14, v14, -2.0
	v_fmaak_f32 v6, s1, v3, 0x293fd856
	s_delay_alu instid0(VALU_DEP_1) | instskip(SKIP_3) | instid1(VALU_DEP_3)
	v_fmaak_f32 v14, v3, v6, 0xa51e770f
	v_add_f64 v[23:24], v[25:26], v[21:22]
	v_mul_f64 v[29:30], v[27:28], s[8:9]
	v_ldexp_f64 v[17:18], v[17:18], 1
	v_add_f64 v[19:20], v[23:24], -v[25:26]
	s_delay_alu instid0(VALU_DEP_3) | instskip(SKIP_2) | instid1(VALU_DEP_2)
	v_fma_f64 v[25:26], v[27:28], s[8:9], -v[29:30]
	s_mov_b32 s8, 0x3b39803f
	s_mov_b32 s9, 0x3c7abc9e
	v_add_f64 v[19:20], v[21:22], -v[19:20]
	s_delay_alu instid0(VALU_DEP_2) | instskip(NEXT) | instid1(VALU_DEP_2)
	v_fma_f64 v[21:22], v[27:28], s[8:9], v[25:26]
	v_add_f64 v[17:18], v[17:18], v[19:20]
	s_delay_alu instid0(VALU_DEP_2) | instskip(NEXT) | instid1(VALU_DEP_2)
	v_add_f64 v[19:20], v[29:30], v[21:22]
	v_add_f64 v[25:26], v[23:24], v[17:18]
	s_delay_alu instid0(VALU_DEP_2) | instskip(NEXT) | instid1(VALU_DEP_2)
	v_add_f64 v[29:30], v[19:20], -v[29:30]
	v_add_f64 v[27:28], v[19:20], v[25:26]
	v_add_f64 v[23:24], v[25:26], -v[23:24]
	s_delay_alu instid0(VALU_DEP_3) | instskip(NEXT) | instid1(VALU_DEP_3)
	v_add_f64 v[21:22], v[21:22], -v[29:30]
	v_add_f64 v[31:32], v[27:28], -v[19:20]
	s_delay_alu instid0(VALU_DEP_3) | instskip(NEXT) | instid1(VALU_DEP_2)
	v_add_f64 v[17:18], v[17:18], -v[23:24]
	v_add_f64 v[33:34], v[27:28], -v[31:32]
	;; [unrolled: 1-line block ×3, first 2 shown]
	s_delay_alu instid0(VALU_DEP_3) | instskip(NEXT) | instid1(VALU_DEP_3)
	v_add_f64 v[25:26], v[21:22], v[17:18]
	v_add_f64 v[19:20], v[19:20], -v[33:34]
	s_delay_alu instid0(VALU_DEP_1) | instskip(NEXT) | instid1(VALU_DEP_3)
	v_add_f64 v[19:20], v[23:24], v[19:20]
	v_add_f64 v[23:24], v[25:26], -v[21:22]
	s_delay_alu instid0(VALU_DEP_2) | instskip(NEXT) | instid1(VALU_DEP_2)
	v_add_f64 v[19:20], v[25:26], v[19:20]
	v_add_f64 v[25:26], v[25:26], -v[23:24]
	v_add_f64 v[17:18], v[17:18], -v[23:24]
	s_delay_alu instid0(VALU_DEP_3) | instskip(NEXT) | instid1(VALU_DEP_3)
	v_add_f64 v[29:30], v[27:28], v[19:20]
	v_add_f64 v[21:22], v[21:22], -v[25:26]
	s_delay_alu instid0(VALU_DEP_2) | instskip(NEXT) | instid1(VALU_DEP_2)
	v_add_f64 v[23:24], v[29:30], -v[27:28]
	v_add_f64 v[17:18], v[17:18], v[21:22]
	s_delay_alu instid0(VALU_DEP_2) | instskip(NEXT) | instid1(VALU_DEP_1)
	v_add_f64 v[19:20], v[19:20], -v[23:24]
	v_add_f64 v[17:18], v[17:18], v[19:20]
	s_delay_alu instid0(VALU_DEP_1) | instskip(SKIP_1) | instid1(VALU_DEP_1)
	v_add_f64 v[17:18], v[29:30], v[17:18]
	v_add_f32_e32 v14, 0x2d3612e2, v14
	v_fma_f32 v6, v3, v14, -v6
	s_delay_alu instid0(VALU_DEP_1) | instskip(NEXT) | instid1(VALU_DEP_1)
	v_add_f32_e32 v6, 0x3102e09b, v6
	v_fma_f32 v14, v3, v6, -v14
	s_delay_alu instid0(VALU_DEP_1) | instskip(NEXT) | instid1(VALU_DEP_1)
	;; [unrolled: 3-line block ×7, first 2 shown]
	v_add_f32_e32 v3, 0xbf090b37, v3
	v_dual_sub_f32 v3, v3, v6 :: v_dual_cndmask_b32 v6, v17, v15
	v_cndmask_b32_e32 v17, v18, v16, vcc_lo
	v_cmp_neq_f64_e32 vcc_lo, 0, v[15:16]
	s_delay_alu instid0(VALU_DEP_3) | instskip(NEXT) | instid1(VALU_DEP_1)
	v_mul_f32_e32 v3, 0.5, v3
	v_cvt_f64_f32_e32 v[14:15], v3
	v_cvt_f64_f32_e32 v[2:3], v2
	v_cndmask_b32_e32 v17, 0xfff00000, v17, vcc_lo
	v_cndmask_b32_e32 v16, 0, v6, vcc_lo
	s_delay_alu instid0(VALU_DEP_1) | instskip(NEXT) | instid1(VALU_DEP_1)
	v_fma_f64 v[2:3], -v[16:17], v[2:3], v[14:15]
                                        ; implicit-def: $vgpr14
	v_cvt_f32_f64_e32 v6, v[2:3]
.LBB12_31:
	s_and_not1_saveexec_b32 s6, s6
	s_cbranch_execz .LBB12_33
; %bb.32:
	v_div_scale_f32 v2, null, v14, v14, 0x41000000
	v_div_scale_f32 v15, vcc_lo, 0x41000000, v14, 0x41000000
	s_mov_b32 s1, 0x22c38d2e
	s_delay_alu instid0(VALU_DEP_2) | instskip(SKIP_2) | instid1(VALU_DEP_1)
	v_rcp_f32_e32 v3, v2
	s_waitcnt_depctr 0xfff
	v_fma_f32 v6, -v2, v3, 1.0
	v_fmac_f32_e32 v3, v6, v3
	s_delay_alu instid0(VALU_DEP_1) | instskip(NEXT) | instid1(VALU_DEP_1)
	v_mul_f32_e32 v6, v15, v3
	v_fma_f32 v16, -v2, v6, v15
	s_delay_alu instid0(VALU_DEP_1) | instskip(SKIP_1) | instid1(VALU_DEP_2)
	v_fmac_f32_e32 v6, v16, v3
	v_mul_f32_e32 v16, 0xbfb8aa3b, v14
	v_fma_f32 v2, -v2, v6, v15
	v_mul_f32_e32 v15, 0x4f800000, v14
	s_delay_alu instid0(VALU_DEP_3) | instskip(SKIP_1) | instid1(VALU_DEP_4)
	v_rndne_f32_e32 v17, v16
	v_fma_f32 v18, 0xbfb8aa3b, v14, -v16
	v_div_fmas_f32 v2, v2, v3, v6
	v_cmp_gt_f32_e32 vcc_lo, 0xf800000, v14
	s_delay_alu instid0(VALU_DEP_4) | instskip(NEXT) | instid1(VALU_DEP_4)
	v_sub_f32_e32 v16, v16, v17
	v_fmamk_f32 v18, v14, 0xb2a5705f, v18
	v_cvt_i32_f32_e32 v17, v17
	v_div_fixup_f32 v2, v2, v14, 0x41000000
	s_delay_alu instid0(VALU_DEP_3) | instskip(NEXT) | instid1(VALU_DEP_2)
	v_dual_cndmask_b32 v15, v14, v15 :: v_dual_add_f32 v16, v16, v18
	v_add_f32_e32 v2, -2.0, v2
	s_delay_alu instid0(VALU_DEP_2) | instskip(NEXT) | instid1(VALU_DEP_2)
	v_sqrt_f32_e32 v19, v15
	v_exp_f32_e32 v16, v16
	s_delay_alu instid0(VALU_DEP_1) | instskip(NEXT) | instid1(VALU_DEP_1)
	v_fmaak_f32 v3, s1, v2, 0xa397f665
	v_fmaak_f32 v6, v2, v3, 0xa2c38d2e
	s_waitcnt_depctr 0xfff
	v_add_nc_u32_e32 v18, -1, v19
	v_add_nc_u32_e32 v20, 1, v19
	v_add_f32_e32 v6, 0x24704972, v6
	s_delay_alu instid0(VALU_DEP_3) | instskip(NEXT) | instid1(VALU_DEP_3)
	v_fma_f32 v21, -v18, v19, v15
	v_fma_f32 v22, -v20, v19, v15
	s_delay_alu instid0(VALU_DEP_3) | instskip(NEXT) | instid1(VALU_DEP_3)
	v_fma_f32 v3, v2, v6, -v3
	v_cmp_ge_f32_e64 s1, 0, v21
	s_delay_alu instid0(VALU_DEP_2) | instskip(NEXT) | instid1(VALU_DEP_2)
	v_add_f32_e32 v3, 0xa5417ca4, v3
	v_cndmask_b32_e64 v18, v19, v18, s1
	v_cmp_lt_f32_e64 s1, 0, v22
	s_delay_alu instid0(VALU_DEP_3) | instskip(NEXT) | instid1(VALU_DEP_1)
	v_fma_f32 v6, v2, v3, -v6
	v_add_f32_e32 v6, 0x261edfcb, v6
	s_delay_alu instid0(VALU_DEP_1) | instskip(NEXT) | instid1(VALU_DEP_1)
	v_fma_f32 v3, v2, v6, -v3
	v_add_f32_e32 v3, 0xa7053487, v3
	s_delay_alu instid0(VALU_DEP_1) | instskip(NEXT) | instid1(VALU_DEP_1)
	v_fma_f32 v6, v2, v3, -v6
	v_add_f32_e32 v6, 0x27e46ce2, v6
	s_delay_alu instid0(VALU_DEP_1) | instskip(NEXT) | instid1(VALU_DEP_1)
	v_fma_f32 v3, v2, v6, -v3
	v_add_f32_e32 v3, 0xa8c8a2f6, v3
	s_delay_alu instid0(VALU_DEP_1) | instskip(NEXT) | instid1(VALU_DEP_1)
	v_fma_f32 v6, v2, v3, -v6
	v_add_f32_e32 v6, 0x29b4e276, v6
	s_delay_alu instid0(VALU_DEP_1) | instskip(NEXT) | instid1(VALU_DEP_1)
	v_fma_f32 v3, v2, v6, -v3
	v_add_f32_e32 v3, 0xaaa7c3b9, v3
	s_delay_alu instid0(VALU_DEP_1) | instskip(NEXT) | instid1(VALU_DEP_1)
	v_fma_f32 v6, v2, v3, -v6
	v_add_f32_e32 v6, 0x2ba07d19, v6
	s_delay_alu instid0(VALU_DEP_1) | instskip(NEXT) | instid1(VALU_DEP_1)
	v_fma_f32 v3, v2, v6, -v3
	v_add_f32_e32 v3, 0xac9ed7e2, v3
	s_delay_alu instid0(VALU_DEP_1) | instskip(NEXT) | instid1(VALU_DEP_1)
	v_fma_f32 v6, v2, v3, -v6
	v_add_f32_e32 v6, 0x2da34042, v6
	s_delay_alu instid0(VALU_DEP_1) | instskip(NEXT) | instid1(VALU_DEP_1)
	v_fma_f32 v3, v2, v6, -v3
	v_add_f32_e32 v3, 0xaeaefcaf, v3
	s_delay_alu instid0(VALU_DEP_1) | instskip(NEXT) | instid1(VALU_DEP_1)
	v_fma_f32 v6, v2, v3, -v6
	v_add_f32_e32 v6, 0x2fc4ab64, v6
	s_delay_alu instid0(VALU_DEP_1) | instskip(NEXT) | instid1(VALU_DEP_1)
	v_fma_f32 v3, v2, v6, -v3
	v_add_f32_e32 v3, 0xb0e94eb0, v3
	s_delay_alu instid0(VALU_DEP_1) | instskip(NEXT) | instid1(VALU_DEP_1)
	v_fma_f32 v6, v2, v3, -v6
	v_add_f32_e32 v6, 0x32134d00, v6
	s_delay_alu instid0(VALU_DEP_1) | instskip(NEXT) | instid1(VALU_DEP_1)
	v_fma_f32 v3, v2, v6, -v3
	v_add_f32_e32 v3, 0xb3482aa1, v3
	s_delay_alu instid0(VALU_DEP_1) | instskip(NEXT) | instid1(VALU_DEP_1)
	v_fma_f32 v6, v2, v3, -v6
	v_add_f32_e32 v6, 0x34948acc, v6
	s_delay_alu instid0(VALU_DEP_1) | instskip(NEXT) | instid1(VALU_DEP_1)
	v_fma_f32 v3, v2, v6, -v3
	v_add_f32_e32 v3, 0xb5f5daa4, v3
	s_delay_alu instid0(VALU_DEP_1) | instskip(NEXT) | instid1(VALU_DEP_1)
	v_fma_f32 v6, v2, v3, -v6
	v_add_f32_e32 v6, 0x376a09fe, v6
	s_delay_alu instid0(VALU_DEP_1) | instskip(NEXT) | instid1(VALU_DEP_1)
	v_fma_f32 v3, v2, v6, -v3
	v_add_f32_e32 v3, 0xb906bcbf, v3
	s_delay_alu instid0(VALU_DEP_1) | instskip(NEXT) | instid1(VALU_DEP_1)
	v_fma_f32 v6, v2, v3, -v6
	v_add_f32_e32 v6, 0x3acdc490, v6
	s_delay_alu instid0(VALU_DEP_1) | instskip(NEXT) | instid1(VALU_DEP_1)
	v_fma_f32 v3, v2, v6, -v3
	v_add_f32_e32 v3, 0xbd00cfb9, v3
	s_delay_alu instid0(VALU_DEP_1) | instskip(SKIP_3) | instid1(VALU_DEP_4)
	v_fma_f32 v2, v2, v3, -v6
	v_ldexp_f32 v3, v16, v17
	v_cndmask_b32_e64 v16, v18, v20, s1
	v_cmp_nlt_f32_e64 s1, 0x42ce8ed0, v14
	v_add_f32_e32 v2, 0x401c2ded, v2
	s_delay_alu instid0(VALU_DEP_3) | instskip(NEXT) | instid1(VALU_DEP_3)
	v_mul_f32_e32 v17, 0x37800000, v16
	v_cndmask_b32_e64 v3, 0, v3, s1
	v_cmp_ngt_f32_e64 s1, 0xc2b17218, v14
	s_delay_alu instid0(VALU_DEP_4) | instskip(NEXT) | instid1(VALU_DEP_4)
	v_sub_f32_e32 v2, v2, v6
	v_cndmask_b32_e32 v6, v16, v17, vcc_lo
	v_cmp_class_f32_e64 vcc_lo, v15, 0x260
	s_delay_alu instid0(VALU_DEP_4) | instskip(NEXT) | instid1(VALU_DEP_4)
	v_cndmask_b32_e64 v3, 0x7f800000, v3, s1
	v_mul_f32_e32 v2, 0.5, v2
	s_delay_alu instid0(VALU_DEP_4) | instskip(NEXT) | instid1(VALU_DEP_2)
	v_cndmask_b32_e32 v6, v6, v15, vcc_lo
	v_mul_f32_e32 v2, v3, v2
	s_delay_alu instid0(VALU_DEP_1) | instskip(NEXT) | instid1(VALU_DEP_1)
	v_div_scale_f32 v3, null, v6, v6, v2
	v_rcp_f32_e32 v14, v3
	s_waitcnt_depctr 0xfff
	v_fma_f32 v15, -v3, v14, 1.0
	s_delay_alu instid0(VALU_DEP_1) | instskip(SKIP_1) | instid1(VALU_DEP_1)
	v_fmac_f32_e32 v14, v15, v14
	v_div_scale_f32 v15, vcc_lo, v2, v6, v2
	v_mul_f32_e32 v16, v15, v14
	s_delay_alu instid0(VALU_DEP_1) | instskip(NEXT) | instid1(VALU_DEP_1)
	v_fma_f32 v17, -v3, v16, v15
	v_fmac_f32_e32 v16, v17, v14
	s_delay_alu instid0(VALU_DEP_1) | instskip(NEXT) | instid1(VALU_DEP_1)
	v_fma_f32 v3, -v3, v16, v15
	v_div_fmas_f32 v3, v3, v14, v16
	s_delay_alu instid0(VALU_DEP_1)
	v_div_fixup_f32 v6, v3, v6, v2
.LBB12_33:
	s_or_b32 exec_lo, exec_lo, s6
.LBB12_34:
	s_delay_alu instid0(SALU_CYCLE_1)
	s_or_b32 exec_lo, exec_lo, s5
.LBB12_35:
	s_delay_alu instid0(SALU_CYCLE_1)
	s_or_b32 exec_lo, exec_lo, s4
.LBB12_36:
	s_delay_alu instid0(SALU_CYCLE_1) | instskip(SKIP_2) | instid1(VALU_DEP_1)
	s_or_b32 exec_lo, exec_lo, s3
	v_add_nc_u32_e32 v2, 0x200, v11
	s_mov_b32 s3, exec_lo
	v_cmpx_lt_i32_e64 v2, v4
	s_cbranch_execz .LBB12_50
; %bb.37:
	v_mov_b32_e32 v7, 0x7f800000
	s_mov_b32 s4, exec_lo
	s_waitcnt vmcnt(0) lgkmcnt(0)
	v_cmpx_neq_f32_e32 0, v13
	s_cbranch_execz .LBB12_49
; %bb.38:
	v_mov_b32_e32 v7, 0x7fc00000
	s_mov_b32 s5, exec_lo
	v_cmpx_ngt_f32_e32 0, v13
	s_cbranch_execz .LBB12_48
; %bb.39:
	s_mov_b32 s1, exec_lo
	v_cmpx_ge_f32_e32 2.0, v13
	s_xor_b32 s6, exec_lo, s1
	s_cbranch_execz .LBB12_45
; %bb.40:
	v_mul_f32_e32 v3, 0x3fb8aa3b, v13
	s_mov_b32 s1, exec_lo
                                        ; implicit-def: $vgpr2
	v_cmpx_ge_f32_e32 0x41000000, v13
	s_xor_b32 s1, exec_lo, s1
	s_cbranch_execz .LBB12_42
; %bb.41:
	v_fma_f32 v2, v13, 0.5, -2.0
	v_rndne_f32_e32 v15, v3
	v_fma_f32 v16, 0x3fb8aa3b, v13, -v3
	s_mov_b32 s7, 0xa2a2e5b9
	v_cmp_ngt_f32_e32 vcc_lo, 0xc2ce8ed0, v13
	v_fmaak_f32 v7, s7, v2, 0x24199b15
	s_delay_alu instid0(VALU_DEP_3) | instskip(SKIP_1) | instid1(VALU_DEP_2)
	v_dual_sub_f32 v3, v3, v15 :: v_dual_fmamk_f32 v16, v13, 0x32a5705f, v16
	v_cvt_i32_f32_e32 v15, v15
	v_dual_fmaak_f32 v14, v2, v7, 0x22a2e5b9 :: v_dual_add_f32 v3, v3, v16
	s_delay_alu instid0(VALU_DEP_1) | instskip(SKIP_2) | instid1(VALU_DEP_1)
	v_exp_f32_e32 v3, v3
	s_waitcnt_depctr 0xfff
	v_ldexp_f32 v3, v3, v15
	v_dual_add_f32 v14, 0xa58c275c, v14 :: v_dual_cndmask_b32 v3, 0, v3
	s_delay_alu instid0(VALU_DEP_1) | instskip(SKIP_1) | instid1(VALU_DEP_2)
	v_fma_f32 v7, v2, v14, -v7
	v_cmp_nlt_f32_e32 vcc_lo, 0x42b17218, v13
	v_add_f32_e32 v7, 0x26f736c5, v7
	s_delay_alu instid0(VALU_DEP_4) | instskip(NEXT) | instid1(VALU_DEP_2)
	v_cndmask_b32_e32 v3, 0x7f800000, v3, vcc_lo
	v_fma_f32 v14, v2, v7, -v14
	s_delay_alu instid0(VALU_DEP_1) | instskip(NEXT) | instid1(VALU_DEP_1)
	v_add_f32_e32 v14, 0xa8528116, v14
	v_fma_f32 v7, v2, v14, -v7
	s_delay_alu instid0(VALU_DEP_1) | instskip(NEXT) | instid1(VALU_DEP_1)
	v_add_f32_e32 v7, 0x29acda32, v7
	;; [unrolled: 3-line block ×26, first 2 shown]
	v_sub_f32_e32 v2, v2, v7
	s_delay_alu instid0(VALU_DEP_1) | instskip(NEXT) | instid1(VALU_DEP_1)
	v_mul_f32_e32 v2, 0.5, v2
	v_mul_f32_e32 v2, v3, v2
                                        ; implicit-def: $vgpr3
.LBB12_42:
	s_and_not1_saveexec_b32 s7, s1
	s_cbranch_execz .LBB12_44
; %bb.43:
	v_div_scale_f32 v2, null, v13, v13, 0x42000000
	v_div_scale_f32 v15, vcc_lo, 0x42000000, v13, 0x42000000
	s_mov_b32 s1, 0xa3056dbb
	s_delay_alu instid0(VALU_DEP_2) | instskip(SKIP_1) | instid1(VALU_DEP_1)
	v_rcp_f32_e32 v7, v2
	v_fma_f32 v17, 0x3fb8aa3b, v13, -v3
	v_fmamk_f32 v17, v13, 0x32a5705f, v17
	s_waitcnt_depctr 0xfff
	v_fma_f32 v14, -v2, v7, 1.0
	s_delay_alu instid0(VALU_DEP_1) | instskip(NEXT) | instid1(VALU_DEP_1)
	v_fmac_f32_e32 v7, v14, v7
	v_mul_f32_e32 v14, v15, v7
	s_delay_alu instid0(VALU_DEP_1) | instskip(NEXT) | instid1(VALU_DEP_1)
	v_fma_f32 v16, -v2, v14, v15
	v_fmac_f32_e32 v14, v16, v7
	v_rndne_f32_e32 v16, v3
	s_delay_alu instid0(VALU_DEP_2) | instskip(SKIP_1) | instid1(VALU_DEP_3)
	v_fma_f32 v2, -v2, v14, v15
	v_mul_f32_e32 v15, 0x4f800000, v13
	v_sub_f32_e32 v3, v3, v16
	v_cvt_i32_f32_e32 v16, v16
	s_delay_alu instid0(VALU_DEP_4) | instskip(SKIP_1) | instid1(VALU_DEP_4)
	v_div_fmas_f32 v2, v2, v7, v14
	v_cmp_gt_f32_e32 vcc_lo, 0xf800000, v13
	v_add_f32_e32 v3, v3, v17
	s_delay_alu instid0(VALU_DEP_3) | instskip(SKIP_1) | instid1(VALU_DEP_3)
	v_div_fixup_f32 v2, v2, v13, 0x42000000
	v_cndmask_b32_e32 v15, v13, v15, vcc_lo
	v_exp_f32_e32 v3, v3
	s_delay_alu instid0(VALU_DEP_2) | instskip(NEXT) | instid1(VALU_DEP_2)
	v_add_f32_e32 v2, -2.0, v2
	v_sqrt_f32_e32 v18, v15
	s_delay_alu instid0(VALU_DEP_1) | instskip(SKIP_4) | instid1(VALU_DEP_2)
	v_fmaak_f32 v7, s1, v2, 0xa2b236d3
	s_waitcnt_depctr 0xfff
	v_ldexp_f32 v3, v3, v16
	v_dual_fmaak_f32 v14, v2, v7, 0x23056dbb :: v_dual_add_nc_u32 v17, -1, v18
	v_add_nc_u32_e32 v19, 1, v18
	v_add_f32_e32 v14, 0x244df0c1, v14
	s_delay_alu instid0(VALU_DEP_3) | instskip(NEXT) | instid1(VALU_DEP_3)
	v_fma_f32 v20, -v17, v18, v15
	v_fma_f32 v21, -v19, v18, v15
	s_delay_alu instid0(VALU_DEP_3) | instskip(NEXT) | instid1(VALU_DEP_3)
	v_fma_f32 v7, v2, v14, -v7
	v_cmp_ge_f32_e64 s1, 0, v20
	s_delay_alu instid0(VALU_DEP_2) | instskip(NEXT) | instid1(VALU_DEP_2)
	v_add_f32_e32 v7, 0x241f9ee8, v7
	v_cndmask_b32_e64 v17, v18, v17, s1
	v_cmp_lt_f32_e64 s1, 0, v21
	s_delay_alu instid0(VALU_DEP_3) | instskip(NEXT) | instid1(VALU_DEP_1)
	v_fma_f32 v14, v2, v7, -v14
	v_add_f32_e32 v14, 0xa5a3005d, v14
	s_delay_alu instid0(VALU_DEP_1) | instskip(NEXT) | instid1(VALU_DEP_1)
	v_fma_f32 v7, v2, v14, -v7
	v_add_f32_e32 v7, 0xa5c5773f, v7
	s_delay_alu instid0(VALU_DEP_1) | instskip(NEXT) | instid1(VALU_DEP_1)
	;; [unrolled: 3-line block ×19, first 2 shown]
	v_fma_f32 v7, v2, v14, -v7
	v_add_f32_e32 v7, 0x3b5ccc65, v7
	s_delay_alu instid0(VALU_DEP_1) | instskip(SKIP_2) | instid1(VALU_DEP_3)
	v_fma_f32 v2, v2, v7, -v14
	v_cndmask_b32_e64 v7, v17, v19, s1
	v_cmp_ngt_f32_e64 s1, 0xc2ce8ed0, v13
	v_add_f32_e32 v2, 0x3f4df315, v2
	s_delay_alu instid0(VALU_DEP_3) | instskip(NEXT) | instid1(VALU_DEP_3)
	v_mul_f32_e32 v16, 0x37800000, v7
	v_cndmask_b32_e64 v3, 0, v3, s1
	v_cmp_nlt_f32_e64 s1, 0x42b17218, v13
	s_delay_alu instid0(VALU_DEP_3) | instskip(SKIP_1) | instid1(VALU_DEP_3)
	v_dual_sub_f32 v2, v2, v14 :: v_dual_cndmask_b32 v7, v7, v16
	v_cmp_class_f32_e64 vcc_lo, v15, 0x260
	v_cndmask_b32_e64 v3, 0x7f800000, v3, s1
	s_delay_alu instid0(VALU_DEP_3) | instskip(NEXT) | instid1(VALU_DEP_1)
	v_dual_mul_f32 v2, 0.5, v2 :: v_dual_cndmask_b32 v7, v7, v15
	v_mul_f32_e32 v2, v3, v2
	s_delay_alu instid0(VALU_DEP_1) | instskip(NEXT) | instid1(VALU_DEP_1)
	v_div_scale_f32 v3, null, v7, v7, v2
	v_rcp_f32_e32 v14, v3
	s_waitcnt_depctr 0xfff
	v_fma_f32 v15, -v3, v14, 1.0
	s_delay_alu instid0(VALU_DEP_1) | instskip(SKIP_1) | instid1(VALU_DEP_1)
	v_fmac_f32_e32 v14, v15, v14
	v_div_scale_f32 v15, vcc_lo, v2, v7, v2
	v_mul_f32_e32 v16, v15, v14
	s_delay_alu instid0(VALU_DEP_1) | instskip(NEXT) | instid1(VALU_DEP_1)
	v_fma_f32 v17, -v3, v16, v15
	v_fmac_f32_e32 v16, v17, v14
	s_delay_alu instid0(VALU_DEP_1) | instskip(NEXT) | instid1(VALU_DEP_1)
	v_fma_f32 v3, -v3, v16, v15
	v_div_fmas_f32 v3, v3, v14, v16
	s_delay_alu instid0(VALU_DEP_1)
	v_div_fixup_f32 v2, v3, v7, v2
.LBB12_44:
	s_or_b32 exec_lo, exec_lo, s7
	v_cvt_f64_f32_e32 v[14:15], v13
	s_mov_b32 s9, 0x3fe55555
	s_mov_b32 s8, 0x55555555
	s_mov_b32 s1, 0x251e770f
	v_mov_b32_e32 v18, 0
	s_mov_b32 s10, 0x6b47b09a
	s_mov_b32 s12, 0xbf559e2b
	;; [unrolled: 1-line block ×4, first 2 shown]
	s_delay_alu instid0(VALU_DEP_2) | instskip(NEXT) | instid1(VALU_DEP_1)
	v_mul_f64 v[14:15], v[14:15], 0.5
	v_frexp_mant_f64_e32 v[16:17], v[14:15]
	v_frexp_exp_i32_f64_e32 v3, v[14:15]
	s_delay_alu instid0(VALU_DEP_2) | instskip(SKIP_2) | instid1(VALU_DEP_3)
	v_cmp_gt_f64_e32 vcc_lo, s[8:9], v[16:17]
	s_mov_b32 s8, 0x55555780
	v_cndmask_b32_e64 v19, 0x3ff00000, 2.0, vcc_lo
	v_subrev_co_ci_u32_e32 v3, vcc_lo, 0, v3, vcc_lo
	v_cmp_eq_f64_e32 vcc_lo, 0x7ff00000, v[14:15]
	s_delay_alu instid0(VALU_DEP_3) | instskip(NEXT) | instid1(VALU_DEP_1)
	v_mul_f64 v[16:17], v[16:17], v[18:19]
	v_add_f64 v[18:19], v[16:17], 1.0
	v_add_f64 v[24:25], v[16:17], -1.0
	s_delay_alu instid0(VALU_DEP_2) | instskip(SKIP_1) | instid1(VALU_DEP_1)
	v_rcp_f64_e32 v[20:21], v[18:19]
	v_add_f64 v[26:27], v[18:19], -1.0
	v_add_f64 v[16:17], v[16:17], -v[26:27]
	s_waitcnt_depctr 0xfff
	v_fma_f64 v[22:23], -v[18:19], v[20:21], 1.0
	s_delay_alu instid0(VALU_DEP_1) | instskip(NEXT) | instid1(VALU_DEP_1)
	v_fma_f64 v[20:21], v[22:23], v[20:21], v[20:21]
	v_fma_f64 v[22:23], -v[18:19], v[20:21], 1.0
	s_delay_alu instid0(VALU_DEP_1) | instskip(NEXT) | instid1(VALU_DEP_1)
	v_fma_f64 v[20:21], v[22:23], v[20:21], v[20:21]
	v_mul_f64 v[22:23], v[24:25], v[20:21]
	s_delay_alu instid0(VALU_DEP_1) | instskip(NEXT) | instid1(VALU_DEP_1)
	v_mul_f64 v[28:29], v[18:19], v[22:23]
	v_fma_f64 v[18:19], v[22:23], v[18:19], -v[28:29]
	s_delay_alu instid0(VALU_DEP_1) | instskip(NEXT) | instid1(VALU_DEP_1)
	v_fma_f64 v[16:17], v[22:23], v[16:17], v[18:19]
	v_add_f64 v[18:19], v[28:29], v[16:17]
	s_delay_alu instid0(VALU_DEP_1) | instskip(SKIP_1) | instid1(VALU_DEP_2)
	v_add_f64 v[26:27], v[24:25], -v[18:19]
	v_add_f64 v[28:29], v[18:19], -v[28:29]
	;; [unrolled: 1-line block ×3, first 2 shown]
	s_delay_alu instid0(VALU_DEP_2) | instskip(NEXT) | instid1(VALU_DEP_2)
	v_add_f64 v[16:17], v[28:29], -v[16:17]
	v_add_f64 v[18:19], v[24:25], -v[18:19]
	s_delay_alu instid0(VALU_DEP_1) | instskip(NEXT) | instid1(VALU_DEP_1)
	v_add_f64 v[16:17], v[16:17], v[18:19]
	v_add_f64 v[16:17], v[26:27], v[16:17]
	s_delay_alu instid0(VALU_DEP_1) | instskip(NEXT) | instid1(VALU_DEP_1)
	v_mul_f64 v[16:17], v[20:21], v[16:17]
	v_add_f64 v[18:19], v[22:23], v[16:17]
	s_delay_alu instid0(VALU_DEP_1) | instskip(NEXT) | instid1(VALU_DEP_1)
	v_mul_f64 v[20:21], v[18:19], v[18:19]
	v_fma_f64 v[24:25], v[20:21], s[12:13], s[10:11]
	s_mov_b32 s10, 0xd7f4df2e
	s_mov_b32 s11, 0x3fc7474d
	v_mul_f64 v[26:27], v[18:19], v[20:21]
	s_delay_alu instid0(VALU_DEP_2)
	v_fma_f64 v[24:25], v[20:21], v[24:25], s[10:11]
	s_mov_b32 s10, 0x16291751
	s_mov_b32 s11, 0x3fcc71c0
	s_delay_alu instid0(VALU_DEP_1) | instid1(SALU_CYCLE_1)
	v_fma_f64 v[24:25], v[20:21], v[24:25], s[10:11]
	s_mov_b32 s10, 0x9b27acf1
	s_mov_b32 s11, 0x3fd24924
	s_delay_alu instid0(VALU_DEP_1) | instid1(SALU_CYCLE_1)
	v_fma_f64 v[24:25], v[20:21], v[24:25], s[10:11]
	s_mov_b32 s10, 0x998ef7b6
	s_mov_b32 s11, 0x3fd99999
	s_delay_alu instid0(VALU_DEP_1) | instid1(SALU_CYCLE_1)
	v_fma_f64 v[24:25], v[20:21], v[24:25], s[10:11]
	s_delay_alu instid0(VALU_DEP_1) | instskip(SKIP_4) | instid1(VALU_DEP_3)
	v_fma_f64 v[20:21], v[20:21], v[24:25], s[8:9]
	v_ldexp_f64 v[24:25], v[18:19], 1
	v_add_f64 v[18:19], v[18:19], -v[22:23]
	s_mov_b32 s8, 0xfefa39ef
	s_mov_b32 s9, 0x3fe62e42
	v_mul_f64 v[20:21], v[26:27], v[20:21]
	v_cvt_f64_i32_e32 v[26:27], v3
	s_delay_alu instid0(VALU_DEP_3) | instskip(SKIP_1) | instid1(VALU_DEP_1)
	v_add_f64 v[16:17], v[16:17], -v[18:19]
	v_fma_f32 v3, v13, v13, -2.0
	v_fmaak_f32 v7, s1, v3, 0x293fd856
	s_delay_alu instid0(VALU_DEP_1) | instskip(SKIP_3) | instid1(VALU_DEP_3)
	v_fmaak_f32 v13, v3, v7, 0xa51e770f
	v_add_f64 v[22:23], v[24:25], v[20:21]
	v_mul_f64 v[28:29], v[26:27], s[8:9]
	v_ldexp_f64 v[16:17], v[16:17], 1
	v_add_f64 v[18:19], v[22:23], -v[24:25]
	s_delay_alu instid0(VALU_DEP_3) | instskip(SKIP_2) | instid1(VALU_DEP_2)
	v_fma_f64 v[24:25], v[26:27], s[8:9], -v[28:29]
	s_mov_b32 s8, 0x3b39803f
	s_mov_b32 s9, 0x3c7abc9e
	v_add_f64 v[18:19], v[20:21], -v[18:19]
	s_delay_alu instid0(VALU_DEP_2) | instskip(NEXT) | instid1(VALU_DEP_2)
	v_fma_f64 v[20:21], v[26:27], s[8:9], v[24:25]
	v_add_f64 v[16:17], v[16:17], v[18:19]
	s_delay_alu instid0(VALU_DEP_2) | instskip(NEXT) | instid1(VALU_DEP_2)
	v_add_f64 v[18:19], v[28:29], v[20:21]
	v_add_f64 v[24:25], v[22:23], v[16:17]
	s_delay_alu instid0(VALU_DEP_2) | instskip(NEXT) | instid1(VALU_DEP_2)
	v_add_f64 v[28:29], v[18:19], -v[28:29]
	v_add_f64 v[26:27], v[18:19], v[24:25]
	v_add_f64 v[22:23], v[24:25], -v[22:23]
	s_delay_alu instid0(VALU_DEP_3) | instskip(NEXT) | instid1(VALU_DEP_3)
	v_add_f64 v[20:21], v[20:21], -v[28:29]
	v_add_f64 v[30:31], v[26:27], -v[18:19]
	s_delay_alu instid0(VALU_DEP_3) | instskip(NEXT) | instid1(VALU_DEP_2)
	v_add_f64 v[16:17], v[16:17], -v[22:23]
	v_add_f64 v[32:33], v[26:27], -v[30:31]
	;; [unrolled: 1-line block ×3, first 2 shown]
	s_delay_alu instid0(VALU_DEP_3) | instskip(NEXT) | instid1(VALU_DEP_3)
	v_add_f64 v[24:25], v[20:21], v[16:17]
	v_add_f64 v[18:19], v[18:19], -v[32:33]
	s_delay_alu instid0(VALU_DEP_1) | instskip(NEXT) | instid1(VALU_DEP_3)
	v_add_f64 v[18:19], v[22:23], v[18:19]
	v_add_f64 v[22:23], v[24:25], -v[20:21]
	s_delay_alu instid0(VALU_DEP_2) | instskip(NEXT) | instid1(VALU_DEP_2)
	v_add_f64 v[18:19], v[24:25], v[18:19]
	v_add_f64 v[24:25], v[24:25], -v[22:23]
	v_add_f64 v[16:17], v[16:17], -v[22:23]
	s_delay_alu instid0(VALU_DEP_3) | instskip(NEXT) | instid1(VALU_DEP_3)
	v_add_f64 v[28:29], v[26:27], v[18:19]
	v_add_f64 v[20:21], v[20:21], -v[24:25]
	s_delay_alu instid0(VALU_DEP_2) | instskip(NEXT) | instid1(VALU_DEP_2)
	v_add_f64 v[22:23], v[28:29], -v[26:27]
	v_add_f64 v[16:17], v[16:17], v[20:21]
	s_delay_alu instid0(VALU_DEP_2) | instskip(NEXT) | instid1(VALU_DEP_1)
	v_add_f64 v[18:19], v[18:19], -v[22:23]
	v_add_f64 v[16:17], v[16:17], v[18:19]
	s_delay_alu instid0(VALU_DEP_1) | instskip(SKIP_1) | instid1(VALU_DEP_1)
	v_add_f64 v[16:17], v[28:29], v[16:17]
	v_add_f32_e32 v13, 0x2d3612e2, v13
	v_fma_f32 v7, v3, v13, -v7
	s_delay_alu instid0(VALU_DEP_1) | instskip(NEXT) | instid1(VALU_DEP_1)
	v_add_f32_e32 v7, 0x3102e09b, v7
	v_fma_f32 v13, v3, v7, -v13
	s_delay_alu instid0(VALU_DEP_1) | instskip(NEXT) | instid1(VALU_DEP_1)
	;; [unrolled: 3-line block ×7, first 2 shown]
	v_add_f32_e32 v3, 0xbf090b37, v3
	v_sub_f32_e32 v3, v3, v7
	v_dual_cndmask_b32 v7, v16, v14 :: v_dual_cndmask_b32 v16, v17, v15
	v_cmp_neq_f64_e32 vcc_lo, 0, v[14:15]
	s_delay_alu instid0(VALU_DEP_2) | instskip(NEXT) | instid1(VALU_DEP_3)
	v_dual_cndmask_b32 v16, 0xfff00000, v16 :: v_dual_mul_f32 v3, 0.5, v3
	v_cndmask_b32_e32 v15, 0, v7, vcc_lo
	s_delay_alu instid0(VALU_DEP_2) | instskip(SKIP_1) | instid1(VALU_DEP_1)
	v_cvt_f64_f32_e32 v[13:14], v3
	v_cvt_f64_f32_e32 v[2:3], v2
	v_fma_f64 v[2:3], -v[15:16], v[2:3], v[13:14]
                                        ; implicit-def: $vgpr13
	s_delay_alu instid0(VALU_DEP_1)
	v_cvt_f32_f64_e32 v7, v[2:3]
.LBB12_45:
	s_and_not1_saveexec_b32 s6, s6
	s_cbranch_execz .LBB12_47
; %bb.46:
	v_div_scale_f32 v2, null, v13, v13, 0x41000000
	v_div_scale_f32 v14, vcc_lo, 0x41000000, v13, 0x41000000
	s_mov_b32 s1, 0x22c38d2e
	s_delay_alu instid0(VALU_DEP_2) | instskip(SKIP_2) | instid1(VALU_DEP_1)
	v_rcp_f32_e32 v3, v2
	s_waitcnt_depctr 0xfff
	v_fma_f32 v7, -v2, v3, 1.0
	v_fmac_f32_e32 v3, v7, v3
	s_delay_alu instid0(VALU_DEP_1) | instskip(NEXT) | instid1(VALU_DEP_1)
	v_mul_f32_e32 v7, v14, v3
	v_fma_f32 v15, -v2, v7, v14
	s_delay_alu instid0(VALU_DEP_1) | instskip(SKIP_1) | instid1(VALU_DEP_2)
	v_fmac_f32_e32 v7, v15, v3
	v_mul_f32_e32 v15, 0xbfb8aa3b, v13
	v_fma_f32 v2, -v2, v7, v14
	v_mul_f32_e32 v14, 0x4f800000, v13
	s_delay_alu instid0(VALU_DEP_3) | instskip(SKIP_1) | instid1(VALU_DEP_4)
	v_rndne_f32_e32 v16, v15
	v_fma_f32 v17, 0xbfb8aa3b, v13, -v15
	v_div_fmas_f32 v2, v2, v3, v7
	v_cmp_gt_f32_e32 vcc_lo, 0xf800000, v13
	s_delay_alu instid0(VALU_DEP_3) | instskip(NEXT) | instid1(VALU_DEP_3)
	v_fmamk_f32 v17, v13, 0xb2a5705f, v17
	v_div_fixup_f32 v2, v2, v13, 0x41000000
	v_cndmask_b32_e32 v14, v13, v14, vcc_lo
	s_delay_alu instid0(VALU_DEP_2) | instskip(NEXT) | instid1(VALU_DEP_2)
	v_add_f32_e32 v2, -2.0, v2
	v_sqrt_f32_e32 v18, v14
	s_delay_alu instid0(VALU_DEP_1) | instskip(NEXT) | instid1(VALU_DEP_1)
	v_fmaak_f32 v3, s1, v2, 0xa397f665
	v_fmaak_f32 v7, v2, v3, 0xa2c38d2e
	s_waitcnt_depctr 0xfff
	v_add_nc_u32_e32 v19, 1, v18
	v_add_f32_e32 v7, 0x24704972, v7
	s_delay_alu instid0(VALU_DEP_2) | instskip(NEXT) | instid1(VALU_DEP_2)
	v_fma_f32 v21, -v19, v18, v14
	v_fma_f32 v3, v2, v7, -v3
	s_delay_alu instid0(VALU_DEP_1) | instskip(NEXT) | instid1(VALU_DEP_1)
	v_add_f32_e32 v3, 0xa5417ca4, v3
	v_fma_f32 v7, v2, v3, -v7
	s_delay_alu instid0(VALU_DEP_1) | instskip(NEXT) | instid1(VALU_DEP_1)
	v_add_f32_e32 v7, 0x261edfcb, v7
	;; [unrolled: 3-line block ×21, first 2 shown]
	v_fma_f32 v2, v2, v3, -v7
	v_sub_f32_e32 v15, v15, v16
	v_cvt_i32_f32_e32 v16, v16
	s_delay_alu instid0(VALU_DEP_2) | instskip(NEXT) | instid1(VALU_DEP_1)
	v_dual_add_f32 v2, 0x401c2ded, v2 :: v_dual_add_f32 v15, v15, v17
	v_dual_sub_f32 v2, v2, v7 :: v_dual_add_nc_u32 v17, -1, v18
	s_delay_alu instid0(VALU_DEP_2) | instskip(NEXT) | instid1(VALU_DEP_1)
	v_exp_f32_e32 v15, v15
	v_fma_f32 v20, -v17, v18, v14
	s_delay_alu instid0(VALU_DEP_2) | instskip(NEXT) | instid1(VALU_DEP_2)
	v_mul_f32_e32 v2, 0.5, v2
	v_cmp_ge_f32_e64 s1, 0, v20
	s_waitcnt_depctr 0xfff
	v_ldexp_f32 v3, v15, v16
	v_cndmask_b32_e64 v17, v18, v17, s1
	v_cmp_lt_f32_e64 s1, 0, v21
	s_delay_alu instid0(VALU_DEP_1) | instskip(SKIP_1) | instid1(VALU_DEP_2)
	v_cndmask_b32_e64 v15, v17, v19, s1
	v_cmp_nlt_f32_e64 s1, 0x42ce8ed0, v13
	v_mul_f32_e32 v16, 0x37800000, v15
	s_delay_alu instid0(VALU_DEP_2) | instskip(SKIP_1) | instid1(VALU_DEP_3)
	v_cndmask_b32_e64 v3, 0, v3, s1
	v_cmp_ngt_f32_e64 s1, 0xc2b17218, v13
	v_cndmask_b32_e32 v7, v15, v16, vcc_lo
	v_cmp_class_f32_e64 vcc_lo, v14, 0x260
	s_delay_alu instid0(VALU_DEP_3) | instskip(NEXT) | instid1(VALU_DEP_3)
	v_cndmask_b32_e64 v3, 0x7f800000, v3, s1
	v_cndmask_b32_e32 v7, v7, v14, vcc_lo
	s_delay_alu instid0(VALU_DEP_2) | instskip(NEXT) | instid1(VALU_DEP_1)
	v_mul_f32_e32 v2, v3, v2
	v_div_scale_f32 v3, null, v7, v7, v2
	s_delay_alu instid0(VALU_DEP_1) | instskip(SKIP_2) | instid1(VALU_DEP_1)
	v_rcp_f32_e32 v13, v3
	s_waitcnt_depctr 0xfff
	v_fma_f32 v14, -v3, v13, 1.0
	v_fmac_f32_e32 v13, v14, v13
	v_div_scale_f32 v14, vcc_lo, v2, v7, v2
	s_delay_alu instid0(VALU_DEP_1) | instskip(NEXT) | instid1(VALU_DEP_1)
	v_mul_f32_e32 v15, v14, v13
	v_fma_f32 v16, -v3, v15, v14
	s_delay_alu instid0(VALU_DEP_1) | instskip(NEXT) | instid1(VALU_DEP_1)
	v_fmac_f32_e32 v15, v16, v13
	v_fma_f32 v3, -v3, v15, v14
	s_delay_alu instid0(VALU_DEP_1) | instskip(NEXT) | instid1(VALU_DEP_1)
	v_div_fmas_f32 v3, v3, v13, v15
	v_div_fixup_f32 v7, v3, v7, v2
.LBB12_47:
	s_or_b32 exec_lo, exec_lo, s6
.LBB12_48:
	s_delay_alu instid0(SALU_CYCLE_1)
	s_or_b32 exec_lo, exec_lo, s5
.LBB12_49:
	s_delay_alu instid0(SALU_CYCLE_1)
	s_or_b32 exec_lo, exec_lo, s4
.LBB12_50:
	s_delay_alu instid0(SALU_CYCLE_1) | instskip(SKIP_2) | instid1(VALU_DEP_1)
	s_or_b32 exec_lo, exec_lo, s3
	v_add_nc_u32_e32 v2, 0x300, v11
	s_mov_b32 s3, exec_lo
	v_cmpx_lt_i32_e64 v2, v4
	s_cbranch_execnz .LBB12_56
; %bb.51:
	s_or_b32 exec_lo, exec_lo, s3
	s_and_saveexec_b32 s1, s0
	s_delay_alu instid0(SALU_CYCLE_1)
	s_xor_b32 s0, exec_lo, s1
	s_cbranch_execnz .LBB12_69
.LBB12_52:
	s_or_b32 exec_lo, exec_lo, s0
	s_delay_alu instid0(SALU_CYCLE_1)
	s_mov_b32 s0, exec_lo
	v_cmpx_lt_i32_e64 v11, v4
	s_cbranch_execnz .LBB12_70
.LBB12_53:
	s_or_b32 exec_lo, exec_lo, s0
	s_delay_alu instid0(SALU_CYCLE_1)
	s_mov_b32 s0, exec_lo
	v_cmpx_lt_i32_e64 v11, v4
	s_cbranch_execnz .LBB12_71
.LBB12_54:
	s_or_b32 exec_lo, exec_lo, s0
	s_delay_alu instid0(SALU_CYCLE_1)
	s_mov_b32 s0, exec_lo
	v_cmpx_lt_i32_e64 v11, v4
	s_cbranch_execnz .LBB12_72
.LBB12_55:
	s_or_b32 exec_lo, exec_lo, s0
	s_waitcnt vmcnt(0) lgkmcnt(0)
	s_setpc_b64 s[30:31]
.LBB12_56:
	v_mov_b32_e32 v8, 0x7f800000
	s_mov_b32 s4, exec_lo
	s_waitcnt vmcnt(0) lgkmcnt(0)
	v_cmpx_neq_f32_e32 0, v10
	s_cbranch_execz .LBB12_68
; %bb.57:
	v_mov_b32_e32 v8, 0x7fc00000
	s_mov_b32 s5, exec_lo
	v_cmpx_ngt_f32_e32 0, v10
	s_cbranch_execz .LBB12_67
; %bb.58:
	s_mov_b32 s1, exec_lo
	v_cmpx_ge_f32_e32 2.0, v10
	s_xor_b32 s6, exec_lo, s1
	s_cbranch_execz .LBB12_64
; %bb.59:
	v_mul_f32_e32 v3, 0x3fb8aa3b, v10
	s_mov_b32 s1, exec_lo
                                        ; implicit-def: $vgpr2
	v_cmpx_ge_f32_e32 0x41000000, v10
	s_xor_b32 s1, exec_lo, s1
	s_cbranch_execz .LBB12_61
; %bb.60:
	v_fma_f32 v2, v10, 0.5, -2.0
	v_rndne_f32_e32 v14, v3
	v_fma_f32 v15, 0x3fb8aa3b, v10, -v3
	s_mov_b32 s7, 0xa2a2e5b9
	v_cmp_ngt_f32_e32 vcc_lo, 0xc2ce8ed0, v10
	s_delay_alu instid0(VALU_DEP_3) | instskip(NEXT) | instid1(VALU_DEP_3)
	v_sub_f32_e32 v3, v3, v14
	v_fmamk_f32 v15, v10, 0x32a5705f, v15
	v_fmaak_f32 v8, s7, v2, 0x24199b15
	v_cvt_i32_f32_e32 v14, v14
	s_delay_alu instid0(VALU_DEP_3) | instskip(NEXT) | instid1(VALU_DEP_3)
	v_add_f32_e32 v3, v3, v15
	v_fmaak_f32 v13, v2, v8, 0x22a2e5b9
	s_delay_alu instid0(VALU_DEP_2) | instskip(NEXT) | instid1(VALU_DEP_1)
	v_exp_f32_e32 v3, v3
	v_add_f32_e32 v13, 0xa58c275c, v13
	s_delay_alu instid0(VALU_DEP_1) | instskip(SKIP_2) | instid1(VALU_DEP_1)
	v_fma_f32 v8, v2, v13, -v8
	s_waitcnt_depctr 0xfff
	v_ldexp_f32 v3, v3, v14
	v_dual_add_f32 v8, 0x26f736c5, v8 :: v_dual_cndmask_b32 v3, 0, v3
	s_delay_alu instid0(VALU_DEP_1) | instskip(SKIP_1) | instid1(VALU_DEP_3)
	v_fma_f32 v13, v2, v8, -v13
	v_cmp_nlt_f32_e32 vcc_lo, 0x42b17218, v10
	v_cndmask_b32_e32 v3, 0x7f800000, v3, vcc_lo
	s_delay_alu instid0(VALU_DEP_3) | instskip(NEXT) | instid1(VALU_DEP_1)
	v_add_f32_e32 v13, 0xa8528116, v13
	v_fma_f32 v8, v2, v13, -v8
	s_delay_alu instid0(VALU_DEP_1) | instskip(NEXT) | instid1(VALU_DEP_1)
	v_add_f32_e32 v8, 0x29acda32, v8
	v_fma_f32 v13, v2, v8, -v13
	s_delay_alu instid0(VALU_DEP_1) | instskip(NEXT) | instid1(VALU_DEP_1)
	v_add_f32_e32 v13, 0xab08b263, v13
	v_fma_f32 v8, v2, v13, -v8
	s_delay_alu instid0(VALU_DEP_1) | instskip(NEXT) | instid1(VALU_DEP_1)
	v_add_f32_e32 v8, 0x2c4ff17f, v8
	v_fma_f32 v13, v2, v8, -v13
	s_delay_alu instid0(VALU_DEP_1) | instskip(NEXT) | instid1(VALU_DEP_1)
	v_add_f32_e32 v13, 0xad97e4ac, v13
	v_fma_f32 v8, v2, v13, -v8
	s_delay_alu instid0(VALU_DEP_1) | instskip(NEXT) | instid1(VALU_DEP_1)
	v_add_f32_e32 v8, 0x2ed4c5f6, v8
	v_fma_f32 v13, v2, v8, -v13
	s_delay_alu instid0(VALU_DEP_1) | instskip(NEXT) | instid1(VALU_DEP_1)
	v_add_f32_e32 v13, 0xb00ea7f1, v13
	v_fma_f32 v8, v2, v13, -v8
	s_delay_alu instid0(VALU_DEP_1) | instskip(NEXT) | instid1(VALU_DEP_1)
	v_add_f32_e32 v8, 0x3136c81d, v8
	v_fma_f32 v13, v2, v8, -v13
	s_delay_alu instid0(VALU_DEP_1) | instskip(NEXT) | instid1(VALU_DEP_1)
	v_add_f32_e32 v13, 0xb25f57b4, v13
	v_fma_f32 v8, v2, v13, -v8
	s_delay_alu instid0(VALU_DEP_1) | instskip(NEXT) | instid1(VALU_DEP_1)
	v_add_f32_e32 v8, 0x3381dbb5, v8
	v_fma_f32 v13, v2, v8, -v13
	s_delay_alu instid0(VALU_DEP_1) | instskip(NEXT) | instid1(VALU_DEP_1)
	v_add_f32_e32 v13, 0xb48f631c, v13
	v_fma_f32 v8, v2, v13, -v8
	s_delay_alu instid0(VALU_DEP_1) | instskip(NEXT) | instid1(VALU_DEP_1)
	v_add_f32_e32 v8, 0x3595f925, v8
	v_fma_f32 v13, v2, v8, -v13
	s_delay_alu instid0(VALU_DEP_1) | instskip(NEXT) | instid1(VALU_DEP_1)
	v_add_f32_e32 v13, 0xb694337e, v13
	v_fma_f32 v8, v2, v13, -v8
	s_delay_alu instid0(VALU_DEP_1) | instskip(NEXT) | instid1(VALU_DEP_1)
	v_add_f32_e32 v8, 0x3789fac6, v8
	v_fma_f32 v13, v2, v8, -v13
	s_delay_alu instid0(VALU_DEP_1) | instskip(NEXT) | instid1(VALU_DEP_1)
	v_add_f32_e32 v13, 0xb8715933, v13
	v_fma_f32 v8, v2, v13, -v8
	s_delay_alu instid0(VALU_DEP_1) | instskip(NEXT) | instid1(VALU_DEP_1)
	v_add_f32_e32 v8, 0x3945a8dc, v8
	v_fma_f32 v13, v2, v8, -v13
	s_delay_alu instid0(VALU_DEP_1) | instskip(NEXT) | instid1(VALU_DEP_1)
	v_add_f32_e32 v13, 0xba1717e9, v13
	v_fma_f32 v8, v2, v13, -v8
	s_delay_alu instid0(VALU_DEP_1) | instskip(NEXT) | instid1(VALU_DEP_1)
	v_add_f32_e32 v8, 0x3ad6e3ac, v8
	v_fma_f32 v13, v2, v8, -v13
	s_delay_alu instid0(VALU_DEP_1) | instskip(NEXT) | instid1(VALU_DEP_1)
	v_add_f32_e32 v13, 0xbb8db2f1, v13
	v_fma_f32 v8, v2, v13, -v8
	s_delay_alu instid0(VALU_DEP_1) | instskip(NEXT) | instid1(VALU_DEP_1)
	v_add_f32_e32 v8, 0x3c2ccb10, v8
	v_fma_f32 v13, v2, v8, -v13
	s_delay_alu instid0(VALU_DEP_1) | instskip(NEXT) | instid1(VALU_DEP_1)
	v_add_f32_e32 v13, 0xbcc274f8, v13
	v_fma_f32 v8, v2, v13, -v8
	s_delay_alu instid0(VALU_DEP_1) | instskip(NEXT) | instid1(VALU_DEP_1)
	v_add_f32_e32 v8, 0x3d49f456, v8
	v_fma_f32 v13, v2, v8, -v13
	s_delay_alu instid0(VALU_DEP_1) | instskip(NEXT) | instid1(VALU_DEP_1)
	v_add_f32_e32 v13, 0xbdc25b82, v13
	v_fma_f32 v8, v2, v13, -v8
	s_delay_alu instid0(VALU_DEP_1) | instskip(NEXT) | instid1(VALU_DEP_1)
	v_add_f32_e32 v8, 0x3e2fbd64, v8
	v_fma_f32 v13, v2, v8, -v13
	s_delay_alu instid0(VALU_DEP_1) | instskip(NEXT) | instid1(VALU_DEP_1)
	v_add_f32_e32 v13, 0xbe9bff5e, v13
	v_fma_f32 v2, v2, v13, -v8
	s_delay_alu instid0(VALU_DEP_1) | instskip(NEXT) | instid1(VALU_DEP_1)
	v_add_f32_e32 v2, 0x3f2d4275, v2
	v_sub_f32_e32 v2, v2, v8
	s_delay_alu instid0(VALU_DEP_1) | instskip(NEXT) | instid1(VALU_DEP_1)
	v_mul_f32_e32 v2, 0.5, v2
	v_mul_f32_e32 v2, v3, v2
                                        ; implicit-def: $vgpr3
.LBB12_61:
	s_and_not1_saveexec_b32 s7, s1
	s_cbranch_execz .LBB12_63
; %bb.62:
	v_div_scale_f32 v2, null, v10, v10, 0x42000000
	v_div_scale_f32 v14, vcc_lo, 0x42000000, v10, 0x42000000
	s_mov_b32 s1, 0xa3056dbb
	s_delay_alu instid0(VALU_DEP_2) | instskip(SKIP_1) | instid1(VALU_DEP_1)
	v_rcp_f32_e32 v8, v2
	v_fma_f32 v16, 0x3fb8aa3b, v10, -v3
	v_fmamk_f32 v16, v10, 0x32a5705f, v16
	s_waitcnt_depctr 0xfff
	v_fma_f32 v13, -v2, v8, 1.0
	s_delay_alu instid0(VALU_DEP_1) | instskip(NEXT) | instid1(VALU_DEP_1)
	v_fmac_f32_e32 v8, v13, v8
	v_mul_f32_e32 v13, v14, v8
	s_delay_alu instid0(VALU_DEP_1) | instskip(NEXT) | instid1(VALU_DEP_1)
	v_fma_f32 v15, -v2, v13, v14
	v_fmac_f32_e32 v13, v15, v8
	v_rndne_f32_e32 v15, v3
	s_delay_alu instid0(VALU_DEP_2) | instskip(NEXT) | instid1(VALU_DEP_2)
	v_fma_f32 v2, -v2, v13, v14
	v_dual_mul_f32 v14, 0x4f800000, v10 :: v_dual_sub_f32 v3, v3, v15
	v_cvt_i32_f32_e32 v15, v15
	s_delay_alu instid0(VALU_DEP_3) | instskip(SKIP_1) | instid1(VALU_DEP_2)
	v_div_fmas_f32 v2, v2, v8, v13
	v_cmp_gt_f32_e32 vcc_lo, 0xf800000, v10
	v_div_fixup_f32 v2, v2, v10, 0x42000000
	v_cndmask_b32_e32 v14, v10, v14, vcc_lo
	s_delay_alu instid0(VALU_DEP_2) | instskip(NEXT) | instid1(VALU_DEP_2)
	v_add_f32_e32 v2, -2.0, v2
	v_sqrt_f32_e32 v17, v14
	s_delay_alu instid0(VALU_DEP_1) | instskip(SKIP_4) | instid1(VALU_DEP_2)
	v_dual_add_f32 v3, v3, v16 :: v_dual_fmaak_f32 v8, s1, v2, 0xa2b236d3
	s_waitcnt_depctr 0xfff
	v_dual_fmaak_f32 v13, v2, v8, 0x23056dbb :: v_dual_add_nc_u32 v16, -1, v17
	v_add_nc_u32_e32 v18, 1, v17
	v_exp_f32_e32 v3, v3
	v_add_f32_e32 v13, 0x244df0c1, v13
	s_delay_alu instid0(VALU_DEP_1) | instskip(SKIP_3) | instid1(VALU_DEP_1)
	v_fma_f32 v8, v2, v13, -v8
	s_waitcnt_depctr 0xfff
	v_ldexp_f32 v3, v3, v15
	v_add_f32_e32 v8, 0x241f9ee8, v8
	v_fma_f32 v13, v2, v8, -v13
	s_delay_alu instid0(VALU_DEP_1) | instskip(NEXT) | instid1(VALU_DEP_1)
	v_add_f32_e32 v13, 0xa5a3005d, v13
	v_fma_f32 v8, v2, v13, -v8
	s_delay_alu instid0(VALU_DEP_1) | instskip(NEXT) | instid1(VALU_DEP_1)
	;; [unrolled: 3-line block ×18, first 2 shown]
	v_add_f32_e32 v8, 0x3642095e, v8
	v_fma_f32 v13, v2, v8, -v13
	s_delay_alu instid0(VALU_DEP_1) | instskip(SKIP_2) | instid1(VALU_DEP_3)
	v_add_f32_e32 v13, 0x38907d1c, v13
	v_fma_f32 v19, -v16, v17, v14
	v_fma_f32 v20, -v18, v17, v14
	v_fma_f32 v8, v2, v13, -v8
	s_delay_alu instid0(VALU_DEP_3) | instskip(NEXT) | instid1(VALU_DEP_2)
	v_cmp_ge_f32_e64 s1, 0, v19
	v_add_f32_e32 v8, 0x3b5ccc65, v8
	s_delay_alu instid0(VALU_DEP_2) | instskip(SKIP_1) | instid1(VALU_DEP_3)
	v_cndmask_b32_e64 v16, v17, v16, s1
	v_cmp_lt_f32_e64 s1, 0, v20
	v_fma_f32 v2, v2, v8, -v13
	s_delay_alu instid0(VALU_DEP_2) | instskip(SKIP_1) | instid1(VALU_DEP_3)
	v_cndmask_b32_e64 v8, v16, v18, s1
	v_cmp_ngt_f32_e64 s1, 0xc2ce8ed0, v10
	v_add_f32_e32 v2, 0x3f4df315, v2
	s_delay_alu instid0(VALU_DEP_3) | instskip(NEXT) | instid1(VALU_DEP_3)
	v_mul_f32_e32 v15, 0x37800000, v8
	v_cndmask_b32_e64 v3, 0, v3, s1
	v_cmp_nlt_f32_e64 s1, 0x42b17218, v10
	s_delay_alu instid0(VALU_DEP_4) | instskip(NEXT) | instid1(VALU_DEP_4)
	v_sub_f32_e32 v2, v2, v13
	v_cndmask_b32_e32 v8, v8, v15, vcc_lo
	v_cmp_class_f32_e64 vcc_lo, v14, 0x260
	s_delay_alu instid0(VALU_DEP_4) | instskip(NEXT) | instid1(VALU_DEP_4)
	v_cndmask_b32_e64 v3, 0x7f800000, v3, s1
	v_mul_f32_e32 v2, 0.5, v2
	s_delay_alu instid0(VALU_DEP_4) | instskip(NEXT) | instid1(VALU_DEP_2)
	v_cndmask_b32_e32 v8, v8, v14, vcc_lo
	v_mul_f32_e32 v2, v3, v2
	s_delay_alu instid0(VALU_DEP_1) | instskip(NEXT) | instid1(VALU_DEP_1)
	v_div_scale_f32 v3, null, v8, v8, v2
	v_rcp_f32_e32 v13, v3
	s_waitcnt_depctr 0xfff
	v_fma_f32 v14, -v3, v13, 1.0
	s_delay_alu instid0(VALU_DEP_1) | instskip(SKIP_1) | instid1(VALU_DEP_1)
	v_fmac_f32_e32 v13, v14, v13
	v_div_scale_f32 v14, vcc_lo, v2, v8, v2
	v_mul_f32_e32 v15, v14, v13
	s_delay_alu instid0(VALU_DEP_1) | instskip(NEXT) | instid1(VALU_DEP_1)
	v_fma_f32 v16, -v3, v15, v14
	v_fmac_f32_e32 v15, v16, v13
	s_delay_alu instid0(VALU_DEP_1) | instskip(NEXT) | instid1(VALU_DEP_1)
	v_fma_f32 v3, -v3, v15, v14
	v_div_fmas_f32 v3, v3, v13, v15
	s_delay_alu instid0(VALU_DEP_1)
	v_div_fixup_f32 v2, v3, v8, v2
.LBB12_63:
	s_or_b32 exec_lo, exec_lo, s7
	v_cvt_f64_f32_e32 v[13:14], v10
	s_mov_b32 s9, 0x3fe55555
	s_mov_b32 s8, 0x55555555
	;; [unrolled: 1-line block ×3, first 2 shown]
	v_mov_b32_e32 v17, 0
	s_mov_b32 s10, 0x6b47b09a
	s_mov_b32 s12, 0xbf559e2b
	;; [unrolled: 1-line block ×4, first 2 shown]
	s_delay_alu instid0(VALU_DEP_2) | instskip(NEXT) | instid1(VALU_DEP_1)
	v_mul_f64 v[13:14], v[13:14], 0.5
	v_frexp_mant_f64_e32 v[15:16], v[13:14]
	v_frexp_exp_i32_f64_e32 v3, v[13:14]
	s_delay_alu instid0(VALU_DEP_2) | instskip(SKIP_2) | instid1(VALU_DEP_3)
	v_cmp_gt_f64_e32 vcc_lo, s[8:9], v[15:16]
	s_mov_b32 s8, 0x55555780
	v_cndmask_b32_e64 v18, 0x3ff00000, 2.0, vcc_lo
	v_subrev_co_ci_u32_e32 v3, vcc_lo, 0, v3, vcc_lo
	v_cmp_eq_f64_e32 vcc_lo, 0x7ff00000, v[13:14]
	s_delay_alu instid0(VALU_DEP_3) | instskip(NEXT) | instid1(VALU_DEP_1)
	v_mul_f64 v[15:16], v[15:16], v[17:18]
	v_add_f64 v[17:18], v[15:16], 1.0
	v_add_f64 v[23:24], v[15:16], -1.0
	s_delay_alu instid0(VALU_DEP_2) | instskip(SKIP_1) | instid1(VALU_DEP_1)
	v_rcp_f64_e32 v[19:20], v[17:18]
	v_add_f64 v[25:26], v[17:18], -1.0
	v_add_f64 v[15:16], v[15:16], -v[25:26]
	s_waitcnt_depctr 0xfff
	v_fma_f64 v[21:22], -v[17:18], v[19:20], 1.0
	s_delay_alu instid0(VALU_DEP_1) | instskip(NEXT) | instid1(VALU_DEP_1)
	v_fma_f64 v[19:20], v[21:22], v[19:20], v[19:20]
	v_fma_f64 v[21:22], -v[17:18], v[19:20], 1.0
	s_delay_alu instid0(VALU_DEP_1) | instskip(NEXT) | instid1(VALU_DEP_1)
	v_fma_f64 v[19:20], v[21:22], v[19:20], v[19:20]
	v_mul_f64 v[21:22], v[23:24], v[19:20]
	s_delay_alu instid0(VALU_DEP_1) | instskip(NEXT) | instid1(VALU_DEP_1)
	v_mul_f64 v[27:28], v[17:18], v[21:22]
	v_fma_f64 v[17:18], v[21:22], v[17:18], -v[27:28]
	s_delay_alu instid0(VALU_DEP_1) | instskip(NEXT) | instid1(VALU_DEP_1)
	v_fma_f64 v[15:16], v[21:22], v[15:16], v[17:18]
	v_add_f64 v[17:18], v[27:28], v[15:16]
	s_delay_alu instid0(VALU_DEP_1) | instskip(SKIP_1) | instid1(VALU_DEP_2)
	v_add_f64 v[25:26], v[23:24], -v[17:18]
	v_add_f64 v[27:28], v[17:18], -v[27:28]
	;; [unrolled: 1-line block ×3, first 2 shown]
	s_delay_alu instid0(VALU_DEP_2) | instskip(NEXT) | instid1(VALU_DEP_2)
	v_add_f64 v[15:16], v[27:28], -v[15:16]
	v_add_f64 v[17:18], v[23:24], -v[17:18]
	s_delay_alu instid0(VALU_DEP_1) | instskip(NEXT) | instid1(VALU_DEP_1)
	v_add_f64 v[15:16], v[15:16], v[17:18]
	v_add_f64 v[15:16], v[25:26], v[15:16]
	s_delay_alu instid0(VALU_DEP_1) | instskip(NEXT) | instid1(VALU_DEP_1)
	v_mul_f64 v[15:16], v[19:20], v[15:16]
	v_add_f64 v[17:18], v[21:22], v[15:16]
	s_delay_alu instid0(VALU_DEP_1) | instskip(NEXT) | instid1(VALU_DEP_1)
	v_mul_f64 v[19:20], v[17:18], v[17:18]
	v_fma_f64 v[23:24], v[19:20], s[12:13], s[10:11]
	s_mov_b32 s10, 0xd7f4df2e
	s_mov_b32 s11, 0x3fc7474d
	v_mul_f64 v[25:26], v[17:18], v[19:20]
	s_delay_alu instid0(VALU_DEP_2)
	v_fma_f64 v[23:24], v[19:20], v[23:24], s[10:11]
	s_mov_b32 s10, 0x16291751
	s_mov_b32 s11, 0x3fcc71c0
	s_delay_alu instid0(VALU_DEP_1) | instid1(SALU_CYCLE_1)
	v_fma_f64 v[23:24], v[19:20], v[23:24], s[10:11]
	s_mov_b32 s10, 0x9b27acf1
	s_mov_b32 s11, 0x3fd24924
	s_delay_alu instid0(VALU_DEP_1) | instid1(SALU_CYCLE_1)
	;; [unrolled: 4-line block ×3, first 2 shown]
	v_fma_f64 v[23:24], v[19:20], v[23:24], s[10:11]
	s_delay_alu instid0(VALU_DEP_1) | instskip(SKIP_4) | instid1(VALU_DEP_3)
	v_fma_f64 v[19:20], v[19:20], v[23:24], s[8:9]
	v_ldexp_f64 v[23:24], v[17:18], 1
	v_add_f64 v[17:18], v[17:18], -v[21:22]
	s_mov_b32 s8, 0xfefa39ef
	s_mov_b32 s9, 0x3fe62e42
	v_mul_f64 v[19:20], v[25:26], v[19:20]
	v_cvt_f64_i32_e32 v[25:26], v3
	s_delay_alu instid0(VALU_DEP_3) | instskip(SKIP_1) | instid1(VALU_DEP_1)
	v_add_f64 v[15:16], v[15:16], -v[17:18]
	v_fma_f32 v3, v10, v10, -2.0
	v_fmaak_f32 v8, s1, v3, 0x293fd856
	s_delay_alu instid0(VALU_DEP_1) | instskip(NEXT) | instid1(VALU_DEP_1)
	v_fmaak_f32 v10, v3, v8, 0xa51e770f
	v_add_f32_e32 v10, 0x2d3612e2, v10
	s_delay_alu instid0(VALU_DEP_1) | instskip(NEXT) | instid1(VALU_DEP_1)
	v_fma_f32 v8, v3, v10, -v8
	v_add_f32_e32 v8, 0x3102e09b, v8
	s_delay_alu instid0(VALU_DEP_1) | instskip(NEXT) | instid1(VALU_DEP_1)
	v_fma_f32 v10, v3, v8, -v10
	v_add_f32_e32 v10, 0x348815e7, v10
	v_add_f64 v[21:22], v[23:24], v[19:20]
	v_mul_f64 v[27:28], v[25:26], s[8:9]
	v_ldexp_f64 v[15:16], v[15:16], 1
	s_delay_alu instid0(VALU_DEP_4) | instskip(NEXT) | instid1(VALU_DEP_1)
	v_fma_f32 v8, v3, v10, -v8
	v_add_f32_e32 v8, 0x37bfc808, v8
	s_delay_alu instid0(VALU_DEP_1) | instskip(NEXT) | instid1(VALU_DEP_1)
	v_fma_f32 v10, v3, v8, -v10
	v_add_f32_e32 v10, 0x3aa5c174, v10
	s_delay_alu instid0(VALU_DEP_1) | instskip(NEXT) | instid1(VALU_DEP_1)
	v_fma_f32 v8, v3, v10, -v8
	v_add_f32_e32 v8, 0x3d135fb3, v8
	s_delay_alu instid0(VALU_DEP_1)
	v_fma_f32 v10, v3, v8, -v10
	v_add_f64 v[17:18], v[21:22], -v[23:24]
	v_fma_f64 v[23:24], v[25:26], s[8:9], -v[27:28]
	s_mov_b32 s8, 0x3b39803f
	s_mov_b32 s9, 0x3c7abc9e
	v_add_f32_e32 v10, 0x3eb046c4, v10
	s_delay_alu instid0(VALU_DEP_1) | instskip(NEXT) | instid1(VALU_DEP_4)
	v_fma_f32 v3, v3, v10, -v8
	v_add_f64 v[17:18], v[19:20], -v[17:18]
	s_delay_alu instid0(VALU_DEP_4) | instskip(NEXT) | instid1(VALU_DEP_2)
	v_fma_f64 v[19:20], v[25:26], s[8:9], v[23:24]
	v_add_f64 v[15:16], v[15:16], v[17:18]
	s_delay_alu instid0(VALU_DEP_2) | instskip(NEXT) | instid1(VALU_DEP_2)
	v_add_f64 v[17:18], v[27:28], v[19:20]
	v_add_f64 v[23:24], v[21:22], v[15:16]
	s_delay_alu instid0(VALU_DEP_2) | instskip(NEXT) | instid1(VALU_DEP_2)
	v_add_f64 v[27:28], v[17:18], -v[27:28]
	v_add_f64 v[25:26], v[17:18], v[23:24]
	v_add_f64 v[21:22], v[23:24], -v[21:22]
	s_delay_alu instid0(VALU_DEP_3) | instskip(NEXT) | instid1(VALU_DEP_3)
	v_add_f64 v[19:20], v[19:20], -v[27:28]
	v_add_f64 v[29:30], v[25:26], -v[17:18]
	s_delay_alu instid0(VALU_DEP_3) | instskip(NEXT) | instid1(VALU_DEP_2)
	v_add_f64 v[15:16], v[15:16], -v[21:22]
	v_add_f64 v[31:32], v[25:26], -v[29:30]
	;; [unrolled: 1-line block ×3, first 2 shown]
	s_delay_alu instid0(VALU_DEP_3) | instskip(NEXT) | instid1(VALU_DEP_3)
	v_add_f64 v[23:24], v[19:20], v[15:16]
	v_add_f64 v[17:18], v[17:18], -v[31:32]
	s_delay_alu instid0(VALU_DEP_1) | instskip(NEXT) | instid1(VALU_DEP_3)
	v_add_f64 v[17:18], v[21:22], v[17:18]
	v_add_f64 v[21:22], v[23:24], -v[19:20]
	s_delay_alu instid0(VALU_DEP_2) | instskip(NEXT) | instid1(VALU_DEP_2)
	v_add_f64 v[17:18], v[23:24], v[17:18]
	v_add_f64 v[23:24], v[23:24], -v[21:22]
	v_add_f64 v[15:16], v[15:16], -v[21:22]
	s_delay_alu instid0(VALU_DEP_3) | instskip(NEXT) | instid1(VALU_DEP_3)
	v_add_f64 v[27:28], v[25:26], v[17:18]
	v_add_f64 v[19:20], v[19:20], -v[23:24]
	s_delay_alu instid0(VALU_DEP_2) | instskip(NEXT) | instid1(VALU_DEP_2)
	v_add_f64 v[21:22], v[27:28], -v[25:26]
	v_add_f64 v[15:16], v[15:16], v[19:20]
	s_delay_alu instid0(VALU_DEP_2) | instskip(NEXT) | instid1(VALU_DEP_1)
	v_add_f64 v[17:18], v[17:18], -v[21:22]
	v_add_f64 v[15:16], v[15:16], v[17:18]
	s_delay_alu instid0(VALU_DEP_1) | instskip(SKIP_1) | instid1(VALU_DEP_1)
	v_add_f64 v[15:16], v[27:28], v[15:16]
	v_add_f32_e32 v3, 0xbf090b37, v3
	v_sub_f32_e32 v3, v3, v8
	s_delay_alu instid0(VALU_DEP_1) | instskip(NEXT) | instid1(VALU_DEP_4)
	v_dual_mul_f32 v3, 0.5, v3 :: v_dual_cndmask_b32 v8, v15, v13
	v_cndmask_b32_e32 v10, v16, v14, vcc_lo
	v_cmp_neq_f64_e32 vcc_lo, 0, v[13:14]
	s_delay_alu instid0(VALU_DEP_3) | instskip(SKIP_1) | instid1(VALU_DEP_4)
	v_cvt_f64_f32_e32 v[13:14], v3
	v_cvt_f64_f32_e32 v[2:3], v2
	v_cndmask_b32_e32 v16, 0xfff00000, v10, vcc_lo
	v_cndmask_b32_e32 v15, 0, v8, vcc_lo
                                        ; implicit-def: $vgpr10
	s_delay_alu instid0(VALU_DEP_1) | instskip(NEXT) | instid1(VALU_DEP_1)
	v_fma_f64 v[2:3], -v[15:16], v[2:3], v[13:14]
	v_cvt_f32_f64_e32 v8, v[2:3]
.LBB12_64:
	s_and_not1_saveexec_b32 s6, s6
	s_cbranch_execz .LBB12_66
; %bb.65:
	v_div_scale_f32 v2, null, v10, v10, 0x41000000
	v_div_scale_f32 v13, vcc_lo, 0x41000000, v10, 0x41000000
	s_mov_b32 s1, 0x22c38d2e
	s_delay_alu instid0(VALU_DEP_2) | instskip(SKIP_2) | instid1(VALU_DEP_1)
	v_rcp_f32_e32 v3, v2
	s_waitcnt_depctr 0xfff
	v_fma_f32 v8, -v2, v3, 1.0
	v_fmac_f32_e32 v3, v8, v3
	s_delay_alu instid0(VALU_DEP_1) | instskip(NEXT) | instid1(VALU_DEP_1)
	v_mul_f32_e32 v8, v13, v3
	v_fma_f32 v14, -v2, v8, v13
	s_delay_alu instid0(VALU_DEP_1) | instskip(SKIP_1) | instid1(VALU_DEP_2)
	v_fmac_f32_e32 v8, v14, v3
	v_mul_f32_e32 v14, 0xbfb8aa3b, v10
	v_fma_f32 v2, -v2, v8, v13
	v_mul_f32_e32 v13, 0x4f800000, v10
	s_delay_alu instid0(VALU_DEP_3) | instskip(SKIP_1) | instid1(VALU_DEP_4)
	v_rndne_f32_e32 v15, v14
	v_fma_f32 v16, 0xbfb8aa3b, v10, -v14
	v_div_fmas_f32 v2, v2, v3, v8
	v_cmp_gt_f32_e32 vcc_lo, 0xf800000, v10
	s_delay_alu instid0(VALU_DEP_4) | instskip(NEXT) | instid1(VALU_DEP_4)
	v_sub_f32_e32 v14, v14, v15
	v_fmamk_f32 v16, v10, 0xb2a5705f, v16
	v_cvt_i32_f32_e32 v15, v15
	v_div_fixup_f32 v2, v2, v10, 0x41000000
	v_cndmask_b32_e32 v13, v10, v13, vcc_lo
	s_delay_alu instid0(VALU_DEP_4) | instskip(NEXT) | instid1(VALU_DEP_3)
	v_add_f32_e32 v14, v14, v16
	v_add_f32_e32 v2, -2.0, v2
	s_delay_alu instid0(VALU_DEP_3) | instskip(NEXT) | instid1(VALU_DEP_2)
	v_sqrt_f32_e32 v17, v13
	v_exp_f32_e32 v14, v14
	s_delay_alu instid0(VALU_DEP_1) | instskip(NEXT) | instid1(VALU_DEP_1)
	v_fmaak_f32 v3, s1, v2, 0xa397f665
	v_fmaak_f32 v8, v2, v3, 0xa2c38d2e
	s_waitcnt_depctr 0xfff
	v_add_nc_u32_e32 v16, -1, v17
	v_add_nc_u32_e32 v18, 1, v17
	v_add_f32_e32 v8, 0x24704972, v8
	s_delay_alu instid0(VALU_DEP_3) | instskip(NEXT) | instid1(VALU_DEP_3)
	v_fma_f32 v19, -v16, v17, v13
	v_fma_f32 v20, -v18, v17, v13
	s_delay_alu instid0(VALU_DEP_3) | instskip(NEXT) | instid1(VALU_DEP_3)
	v_fma_f32 v3, v2, v8, -v3
	v_cmp_ge_f32_e64 s1, 0, v19
	s_delay_alu instid0(VALU_DEP_2) | instskip(NEXT) | instid1(VALU_DEP_2)
	v_add_f32_e32 v3, 0xa5417ca4, v3
	v_cndmask_b32_e64 v16, v17, v16, s1
	v_cmp_lt_f32_e64 s1, 0, v20
	s_delay_alu instid0(VALU_DEP_3) | instskip(NEXT) | instid1(VALU_DEP_1)
	v_fma_f32 v8, v2, v3, -v8
	v_add_f32_e32 v8, 0x261edfcb, v8
	s_delay_alu instid0(VALU_DEP_1) | instskip(NEXT) | instid1(VALU_DEP_1)
	v_fma_f32 v3, v2, v8, -v3
	v_add_f32_e32 v3, 0xa7053487, v3
	s_delay_alu instid0(VALU_DEP_1) | instskip(NEXT) | instid1(VALU_DEP_1)
	;; [unrolled: 3-line block ×19, first 2 shown]
	v_fma_f32 v3, v2, v8, -v3
	v_add_f32_e32 v3, 0xbd00cfb9, v3
	s_delay_alu instid0(VALU_DEP_1) | instskip(SKIP_3) | instid1(VALU_DEP_4)
	v_fma_f32 v2, v2, v3, -v8
	v_ldexp_f32 v3, v14, v15
	v_cndmask_b32_e64 v14, v16, v18, s1
	v_cmp_nlt_f32_e64 s1, 0x42ce8ed0, v10
	v_add_f32_e32 v2, 0x401c2ded, v2
	s_delay_alu instid0(VALU_DEP_3) | instskip(NEXT) | instid1(VALU_DEP_3)
	v_mul_f32_e32 v15, 0x37800000, v14
	v_cndmask_b32_e64 v3, 0, v3, s1
	v_cmp_ngt_f32_e64 s1, 0xc2b17218, v10
	s_delay_alu instid0(VALU_DEP_4) | instskip(NEXT) | instid1(VALU_DEP_4)
	v_sub_f32_e32 v2, v2, v8
	v_cndmask_b32_e32 v8, v14, v15, vcc_lo
	v_cmp_class_f32_e64 vcc_lo, v13, 0x260
	s_delay_alu instid0(VALU_DEP_4) | instskip(NEXT) | instid1(VALU_DEP_4)
	v_cndmask_b32_e64 v3, 0x7f800000, v3, s1
	v_mul_f32_e32 v2, 0.5, v2
	s_delay_alu instid0(VALU_DEP_4) | instskip(NEXT) | instid1(VALU_DEP_2)
	v_cndmask_b32_e32 v8, v8, v13, vcc_lo
	v_mul_f32_e32 v2, v3, v2
	s_delay_alu instid0(VALU_DEP_1) | instskip(NEXT) | instid1(VALU_DEP_1)
	v_div_scale_f32 v3, null, v8, v8, v2
	v_rcp_f32_e32 v10, v3
	s_waitcnt_depctr 0xfff
	v_fma_f32 v13, -v3, v10, 1.0
	s_delay_alu instid0(VALU_DEP_1) | instskip(SKIP_1) | instid1(VALU_DEP_1)
	v_fmac_f32_e32 v10, v13, v10
	v_div_scale_f32 v13, vcc_lo, v2, v8, v2
	v_mul_f32_e32 v14, v13, v10
	s_delay_alu instid0(VALU_DEP_1) | instskip(NEXT) | instid1(VALU_DEP_1)
	v_fma_f32 v15, -v3, v14, v13
	v_fmac_f32_e32 v14, v15, v10
	s_delay_alu instid0(VALU_DEP_1) | instskip(NEXT) | instid1(VALU_DEP_1)
	v_fma_f32 v3, -v3, v14, v13
	v_div_fmas_f32 v3, v3, v10, v14
	s_delay_alu instid0(VALU_DEP_1)
	v_div_fixup_f32 v8, v3, v8, v2
.LBB12_66:
	s_or_b32 exec_lo, exec_lo, s6
.LBB12_67:
	s_delay_alu instid0(SALU_CYCLE_1)
	s_or_b32 exec_lo, exec_lo, s5
.LBB12_68:
	s_delay_alu instid0(SALU_CYCLE_1) | instskip(NEXT) | instid1(SALU_CYCLE_1)
	s_or_b32 exec_lo, exec_lo, s4
	s_or_b32 exec_lo, exec_lo, s3
	s_and_saveexec_b32 s1, s0
	s_delay_alu instid0(SALU_CYCLE_1)
	s_xor_b32 s0, exec_lo, s1
	s_cbranch_execz .LBB12_52
.LBB12_69:
	s_waitcnt vmcnt(0) lgkmcnt(0)
	v_dual_mov_b32 v10, 0 :: v_dual_mov_b32 v11, v12
	s_delay_alu instid0(VALU_DEP_1) | instskip(NEXT) | instid1(VALU_DEP_1)
	v_lshlrev_b64 v[2:3], 2, v[9:10]
	v_add_co_u32 v2, vcc_lo, v0, v2
	s_delay_alu instid0(VALU_DEP_2) | instskip(SKIP_2) | instid1(SALU_CYCLE_1)
	v_add_co_ci_u32_e32 v3, vcc_lo, v1, v3, vcc_lo
	flat_store_b32 v[2:3], v5
	s_or_b32 exec_lo, exec_lo, s0
	s_mov_b32 s0, exec_lo
	v_cmpx_lt_i32_e64 v11, v4
	s_cbranch_execz .LBB12_53
.LBB12_70:
	v_dual_mov_b32 v3, 0 :: v_dual_add_nc_u32 v2, s2, v11
	v_add_nc_u32_e32 v11, 0x100, v11
	s_delay_alu instid0(VALU_DEP_2) | instskip(NEXT) | instid1(VALU_DEP_1)
	v_lshlrev_b64 v[2:3], 2, v[2:3]
	v_add_co_u32 v2, vcc_lo, v0, v2
	s_delay_alu instid0(VALU_DEP_2) | instskip(SKIP_2) | instid1(SALU_CYCLE_1)
	v_add_co_ci_u32_e32 v3, vcc_lo, v1, v3, vcc_lo
	flat_store_b32 v[2:3], v6
	s_or_b32 exec_lo, exec_lo, s0
	s_mov_b32 s0, exec_lo
	v_cmpx_lt_i32_e64 v11, v4
	s_cbranch_execz .LBB12_54
.LBB12_71:
	v_dual_mov_b32 v3, 0 :: v_dual_add_nc_u32 v2, s2, v11
	v_add_nc_u32_e32 v11, 0x100, v11
	s_delay_alu instid0(VALU_DEP_2) | instskip(NEXT) | instid1(VALU_DEP_1)
	v_lshlrev_b64 v[2:3], 2, v[2:3]
	v_add_co_u32 v2, vcc_lo, v0, v2
	s_delay_alu instid0(VALU_DEP_2) | instskip(SKIP_2) | instid1(SALU_CYCLE_1)
	v_add_co_ci_u32_e32 v3, vcc_lo, v1, v3, vcc_lo
	flat_store_b32 v[2:3], v7
	s_or_b32 exec_lo, exec_lo, s0
	s_mov_b32 s0, exec_lo
	v_cmpx_lt_i32_e64 v11, v4
	s_cbranch_execz .LBB12_55
.LBB12_72:
	v_dual_mov_b32 v3, 0 :: v_dual_add_nc_u32 v2, s2, v11
	s_delay_alu instid0(VALU_DEP_1) | instskip(NEXT) | instid1(VALU_DEP_1)
	v_lshlrev_b64 v[2:3], 2, v[2:3]
	v_add_co_u32 v0, vcc_lo, v0, v2
	s_delay_alu instid0(VALU_DEP_2)
	v_add_co_ci_u32_e32 v1, vcc_lo, v1, v3, vcc_lo
	flat_store_b32 v[0:1], v8
	s_or_b32 exec_lo, exec_lo, s0
	s_waitcnt vmcnt(0) lgkmcnt(0)
	s_setpc_b64 s[30:31]
.Lfunc_end12:
	.size	_ZN2at6native25elementwise_kernel_helperILb0EZZZNS0_12_GLOBAL__N_130modified_bessel_k0_kernel_cudaERNS_18TensorIteratorBaseEENKUlvE_clEvENKUlvE0_clEvEUlfE_NS0_6memory8policies11unroll_baseILi256ESt5arrayIPcLm2EE23TrivialOffsetCalculatorILi1EjESF_NS8_15LoadWithoutCastENS8_16StoreWithoutCastELi4ELi1EEEEEvT0_T1_, .Lfunc_end12-_ZN2at6native25elementwise_kernel_helperILb0EZZZNS0_12_GLOBAL__N_130modified_bessel_k0_kernel_cudaERNS_18TensorIteratorBaseEENKUlvE_clEvENKUlvE0_clEvEUlfE_NS0_6memory8policies11unroll_baseILi256ESt5arrayIPcLm2EE23TrivialOffsetCalculatorILi1EjESF_NS8_15LoadWithoutCastENS8_16StoreWithoutCastELi4ELi1EEEEEvT0_T1_
                                        ; -- End function
	.section	.AMDGPU.csdata,"",@progbits
; Function info:
; codeLenInByte = 16132
; NumSgprs: 34
; NumVgprs: 35
; ScratchSize: 0
; MemoryBound: 0
	.text
	.p2align	2                               ; -- Begin function _ZN2at6native25elementwise_kernel_helperILb0EZZZNS0_12_GLOBAL__N_130modified_bessel_k0_kernel_cudaERNS_18TensorIteratorBaseEENKUlvE_clEvENKUlvE0_clEvEUlfE_NS0_6memory8policies10vectorizedILi4ESt5arrayIPcLm2EELi4EEEEEvT0_T1_
	.type	_ZN2at6native25elementwise_kernel_helperILb0EZZZNS0_12_GLOBAL__N_130modified_bessel_k0_kernel_cudaERNS_18TensorIteratorBaseEENKUlvE_clEvENKUlvE0_clEvEUlfE_NS0_6memory8policies10vectorizedILi4ESt5arrayIPcLm2EELi4EEEEEvT0_T1_,@function
_ZN2at6native25elementwise_kernel_helperILb0EZZZNS0_12_GLOBAL__N_130modified_bessel_k0_kernel_cudaERNS_18TensorIteratorBaseEENKUlvE_clEvENKUlvE0_clEvEUlfE_NS0_6memory8policies10vectorizedILi4ESt5arrayIPcLm2EELi4EEEEEvT0_T1_: ; @_ZN2at6native25elementwise_kernel_helperILb0EZZZNS0_12_GLOBAL__N_130modified_bessel_k0_kernel_cudaERNS_18TensorIteratorBaseEENKUlvE_clEvENKUlvE0_clEvEUlfE_NS0_6memory8policies10vectorizedILi4ESt5arrayIPcLm2EELi4EEEEEvT0_T1_
; %bb.0:
	s_waitcnt vmcnt(0) expcnt(0) lgkmcnt(0)
	s_lshl_b32 s0, s12, 10
	v_and_b32_e32 v4, 0x3ff, v31
	s_ashr_i32 s1, s0, 31
	s_delay_alu instid0(SALU_CYCLE_1) | instskip(SKIP_1) | instid1(VALU_DEP_1)
	s_lshl_b64 s[2:3], s[0:1], 2
	s_mov_b32 s1, exec_lo
	v_lshlrev_b32_e32 v10, 4, v4
	v_add_co_u32 v2, vcc_lo, v2, s2
	v_add_co_ci_u32_e32 v3, vcc_lo, s3, v3, vcc_lo
	s_delay_alu instid0(VALU_DEP_2) | instskip(NEXT) | instid1(VALU_DEP_2)
	v_add_co_u32 v2, vcc_lo, v2, v10
	v_add_co_ci_u32_e32 v3, vcc_lo, 0, v3, vcc_lo
	flat_load_b128 v[6:9], v[2:3]
	v_dual_mov_b32 v3, 0x7f800000 :: v_dual_mov_b32 v2, 0x7f800000
	s_waitcnt vmcnt(0) lgkmcnt(0)
	v_cmpx_neq_f32_e32 0, v6
	s_cbranch_execz .LBB13_12
; %bb.1:
	v_mov_b32_e32 v2, 0x7fc00000
	s_mov_b32 s4, exec_lo
	v_cmpx_ngt_f32_e32 0, v6
	s_cbranch_execz .LBB13_11
; %bb.2:
	s_mov_b32 s0, exec_lo
	v_cmpx_ge_f32_e32 2.0, v6
	s_xor_b32 s5, exec_lo, s0
	s_cbranch_execz .LBB13_8
; %bb.3:
	v_mul_f32_e32 v4, 0x3fb8aa3b, v6
	s_mov_b32 s0, exec_lo
                                        ; implicit-def: $vgpr2
	v_cmpx_ge_f32_e32 0x41000000, v6
	s_xor_b32 s0, exec_lo, s0
	s_cbranch_execz .LBB13_5
; %bb.4:
	v_fma_f32 v2, v6, 0.5, -2.0
	v_rndne_f32_e32 v12, v4
	v_fma_f32 v13, 0x3fb8aa3b, v6, -v4
	s_mov_b32 s6, 0xa2a2e5b9
	v_cmp_ngt_f32_e32 vcc_lo, 0xc2ce8ed0, v6
	s_delay_alu instid0(VALU_DEP_3) | instskip(NEXT) | instid1(VALU_DEP_3)
	v_dual_fmaak_f32 v5, s6, v2, 0x24199b15 :: v_dual_sub_f32 v4, v4, v12
	v_fmamk_f32 v13, v6, 0x32a5705f, v13
	v_cvt_i32_f32_e32 v12, v12
	s_delay_alu instid0(VALU_DEP_2) | instskip(NEXT) | instid1(VALU_DEP_1)
	v_add_f32_e32 v4, v4, v13
	v_exp_f32_e32 v4, v4
	s_waitcnt_depctr 0xfff
	v_ldexp_f32 v4, v4, v12
	s_delay_alu instid0(VALU_DEP_1) | instskip(NEXT) | instid1(VALU_DEP_1)
	v_dual_fmaak_f32 v11, v2, v5, 0x22a2e5b9 :: v_dual_cndmask_b32 v4, 0, v4
	v_add_f32_e32 v11, 0xa58c275c, v11
	v_cmp_nlt_f32_e32 vcc_lo, 0x42b17218, v6
	s_delay_alu instid0(VALU_DEP_2) | instskip(NEXT) | instid1(VALU_DEP_4)
	v_fma_f32 v5, v2, v11, -v5
	v_cndmask_b32_e32 v4, 0x7f800000, v4, vcc_lo
	s_delay_alu instid0(VALU_DEP_2) | instskip(NEXT) | instid1(VALU_DEP_1)
	v_add_f32_e32 v5, 0x26f736c5, v5
	v_fma_f32 v11, v2, v5, -v11
	s_delay_alu instid0(VALU_DEP_1) | instskip(NEXT) | instid1(VALU_DEP_1)
	v_add_f32_e32 v11, 0xa8528116, v11
	v_fma_f32 v5, v2, v11, -v5
	s_delay_alu instid0(VALU_DEP_1) | instskip(NEXT) | instid1(VALU_DEP_1)
	;; [unrolled: 3-line block ×26, first 2 shown]
	v_add_f32_e32 v2, 0x3f2d4275, v2
	v_sub_f32_e32 v2, v2, v5
	s_delay_alu instid0(VALU_DEP_1) | instskip(NEXT) | instid1(VALU_DEP_1)
	v_mul_f32_e32 v2, 0.5, v2
	v_mul_f32_e32 v2, v4, v2
                                        ; implicit-def: $vgpr4
.LBB13_5:
	s_and_not1_saveexec_b32 s6, s0
	s_cbranch_execz .LBB13_7
; %bb.6:
	v_div_scale_f32 v2, null, v6, v6, 0x42000000
	v_div_scale_f32 v12, vcc_lo, 0x42000000, v6, 0x42000000
	s_mov_b32 s0, 0xa3056dbb
	s_delay_alu instid0(VALU_DEP_2) | instskip(SKIP_3) | instid1(VALU_DEP_1)
	v_rcp_f32_e32 v5, v2
	v_fma_f32 v14, 0x3fb8aa3b, v6, -v4
	s_waitcnt_depctr 0xfff
	v_fma_f32 v11, -v2, v5, 1.0
	v_fmac_f32_e32 v5, v11, v5
	s_delay_alu instid0(VALU_DEP_1) | instskip(NEXT) | instid1(VALU_DEP_1)
	v_mul_f32_e32 v11, v12, v5
	v_fma_f32 v13, -v2, v11, v12
	s_delay_alu instid0(VALU_DEP_1) | instskip(SKIP_1) | instid1(VALU_DEP_2)
	v_fmac_f32_e32 v11, v13, v5
	v_rndne_f32_e32 v13, v4
	v_fma_f32 v2, -v2, v11, v12
	v_mul_f32_e32 v12, 0x4f800000, v6
	s_delay_alu instid0(VALU_DEP_3) | instskip(SKIP_1) | instid1(VALU_DEP_4)
	v_sub_f32_e32 v4, v4, v13
	v_cvt_i32_f32_e32 v13, v13
	v_div_fmas_f32 v2, v2, v5, v11
	v_cmp_gt_f32_e32 vcc_lo, 0xf800000, v6
	v_fmamk_f32 v14, v6, 0x32a5705f, v14
	s_delay_alu instid0(VALU_DEP_3) | instskip(SKIP_1) | instid1(VALU_DEP_3)
	v_div_fixup_f32 v2, v2, v6, 0x42000000
	v_cndmask_b32_e32 v12, v6, v12, vcc_lo
	v_add_f32_e32 v4, v4, v14
	s_delay_alu instid0(VALU_DEP_3) | instskip(NEXT) | instid1(VALU_DEP_3)
	v_add_f32_e32 v2, -2.0, v2
	v_sqrt_f32_e32 v15, v12
	s_delay_alu instid0(VALU_DEP_2) | instskip(NEXT) | instid1(VALU_DEP_1)
	v_exp_f32_e32 v4, v4
	v_fmaak_f32 v5, s0, v2, 0xa2b236d3
	s_waitcnt_depctr 0xfff
	v_dual_fmaak_f32 v11, v2, v5, 0x23056dbb :: v_dual_add_nc_u32 v14, -1, v15
	v_ldexp_f32 v4, v4, v13
	v_add_nc_u32_e32 v16, 1, v15
	s_delay_alu instid0(VALU_DEP_3) | instskip(NEXT) | instid1(VALU_DEP_4)
	v_add_f32_e32 v11, 0x244df0c1, v11
	v_fma_f32 v17, -v14, v15, v12
	s_delay_alu instid0(VALU_DEP_3) | instskip(NEXT) | instid1(VALU_DEP_3)
	v_fma_f32 v18, -v16, v15, v12
	v_fma_f32 v5, v2, v11, -v5
	s_delay_alu instid0(VALU_DEP_3) | instskip(NEXT) | instid1(VALU_DEP_2)
	v_cmp_ge_f32_e64 s0, 0, v17
	v_add_f32_e32 v5, 0x241f9ee8, v5
	s_delay_alu instid0(VALU_DEP_2) | instskip(SKIP_1) | instid1(VALU_DEP_3)
	v_cndmask_b32_e64 v14, v15, v14, s0
	v_cmp_lt_f32_e64 s0, 0, v18
	v_fma_f32 v11, v2, v5, -v11
	s_delay_alu instid0(VALU_DEP_1) | instskip(NEXT) | instid1(VALU_DEP_1)
	v_add_f32_e32 v11, 0xa5a3005d, v11
	v_fma_f32 v5, v2, v11, -v5
	s_delay_alu instid0(VALU_DEP_1) | instskip(NEXT) | instid1(VALU_DEP_1)
	v_add_f32_e32 v5, 0xa5c5773f, v5
	v_fma_f32 v11, v2, v5, -v11
	s_delay_alu instid0(VALU_DEP_1) | instskip(NEXT) | instid1(VALU_DEP_1)
	v_add_f32_e32 v11, 0x26ff73ed, v11
	v_fma_f32 v5, v2, v11, -v5
	s_delay_alu instid0(VALU_DEP_1) | instskip(NEXT) | instid1(VALU_DEP_1)
	v_add_f32_e32 v5, 0x2789548d, v5
	v_fma_f32 v11, v2, v5, -v11
	s_delay_alu instid0(VALU_DEP_1) | instskip(NEXT) | instid1(VALU_DEP_1)
	v_add_f32_e32 v11, 0xa82c1ff4, v11
	v_fma_f32 v5, v2, v11, -v5
	s_delay_alu instid0(VALU_DEP_1) | instskip(NEXT) | instid1(VALU_DEP_1)
	v_add_f32_e32 v5, 0xa93aecce, v5
	v_fma_f32 v11, v2, v5, -v11
	s_delay_alu instid0(VALU_DEP_1) | instskip(NEXT) | instid1(VALU_DEP_1)
	v_add_f32_e32 v11, 0x288ab7f8, v11
	v_fma_f32 v5, v2, v11, -v5
	s_delay_alu instid0(VALU_DEP_1) | instskip(NEXT) | instid1(VALU_DEP_1)
	v_add_f32_e32 v5, 0x2ad8e463, v5
	v_fma_f32 v11, v2, v5, -v11
	s_delay_alu instid0(VALU_DEP_1) | instskip(NEXT) | instid1(VALU_DEP_1)
	v_add_f32_e32 v11, 0x2b4a1a40, v11
	v_fma_f32 v5, v2, v11, -v5
	s_delay_alu instid0(VALU_DEP_1) | instskip(NEXT) | instid1(VALU_DEP_1)
	v_add_f32_e32 v5, 0xabfc8218, v5
	v_fma_f32 v11, v2, v5, -v11
	s_delay_alu instid0(VALU_DEP_1) | instskip(NEXT) | instid1(VALU_DEP_1)
	v_add_f32_e32 v11, 0xad687eba, v11
	v_fma_f32 v5, v2, v11, -v5
	s_delay_alu instid0(VALU_DEP_1) | instskip(NEXT) | instid1(VALU_DEP_1)
	v_add_f32_e32 v5, 0xae0a88e8, v5
	v_fma_f32 v11, v2, v5, -v11
	s_delay_alu instid0(VALU_DEP_1) | instskip(NEXT) | instid1(VALU_DEP_1)
	v_add_f32_e32 v11, 0x2d5127f5, v11
	v_fma_f32 v5, v2, v11, -v5
	s_delay_alu instid0(VALU_DEP_1) | instskip(NEXT) | instid1(VALU_DEP_1)
	v_add_f32_e32 v5, 0x3007ce66, v5
	v_fma_f32 v11, v2, v5, -v11
	s_delay_alu instid0(VALU_DEP_1) | instskip(NEXT) | instid1(VALU_DEP_1)
	v_add_f32_e32 v11, 0x31696325, v11
	v_fma_f32 v5, v2, v11, -v5
	s_delay_alu instid0(VALU_DEP_1) | instskip(NEXT) | instid1(VALU_DEP_1)
	v_add_f32_e32 v5, 0x32c2b494, v5
	v_fma_f32 v11, v2, v5, -v11
	s_delay_alu instid0(VALU_DEP_1) | instskip(NEXT) | instid1(VALU_DEP_1)
	v_add_f32_e32 v11, 0x345c003f, v11
	v_fma_f32 v5, v2, v11, -v5
	s_delay_alu instid0(VALU_DEP_1) | instskip(NEXT) | instid1(VALU_DEP_1)
	v_add_f32_e32 v5, 0x3642095e, v5
	v_fma_f32 v11, v2, v5, -v11
	s_delay_alu instid0(VALU_DEP_1) | instskip(NEXT) | instid1(VALU_DEP_1)
	v_add_f32_e32 v11, 0x38907d1c, v11
	v_fma_f32 v5, v2, v11, -v5
	s_delay_alu instid0(VALU_DEP_1) | instskip(NEXT) | instid1(VALU_DEP_1)
	v_add_f32_e32 v5, 0x3b5ccc65, v5
	v_fma_f32 v2, v2, v5, -v11
	v_cndmask_b32_e64 v5, v14, v16, s0
	v_cmp_ngt_f32_e64 s0, 0xc2ce8ed0, v6
	s_delay_alu instid0(VALU_DEP_2) | instskip(NEXT) | instid1(VALU_DEP_2)
	v_mul_f32_e32 v13, 0x37800000, v5
	v_cndmask_b32_e64 v4, 0, v4, s0
	v_cmp_nlt_f32_e64 s0, 0x42b17218, v6
	s_delay_alu instid0(VALU_DEP_3) | instskip(SKIP_2) | instid1(VALU_DEP_4)
	v_cndmask_b32_e32 v5, v5, v13, vcc_lo
	v_cmp_class_f32_e64 vcc_lo, v12, 0x260
	v_add_f32_e32 v2, 0x3f4df315, v2
	v_cndmask_b32_e64 v4, 0x7f800000, v4, s0
	s_delay_alu instid0(VALU_DEP_2) | instskip(NEXT) | instid1(VALU_DEP_1)
	v_dual_cndmask_b32 v5, v5, v12 :: v_dual_sub_f32 v2, v2, v11
	v_mul_f32_e32 v2, 0.5, v2
	s_delay_alu instid0(VALU_DEP_1) | instskip(NEXT) | instid1(VALU_DEP_1)
	v_mul_f32_e32 v2, v4, v2
	v_div_scale_f32 v4, null, v5, v5, v2
	s_delay_alu instid0(VALU_DEP_1) | instskip(SKIP_2) | instid1(VALU_DEP_1)
	v_rcp_f32_e32 v11, v4
	s_waitcnt_depctr 0xfff
	v_fma_f32 v12, -v4, v11, 1.0
	v_fmac_f32_e32 v11, v12, v11
	v_div_scale_f32 v12, vcc_lo, v2, v5, v2
	s_delay_alu instid0(VALU_DEP_1) | instskip(NEXT) | instid1(VALU_DEP_1)
	v_mul_f32_e32 v13, v12, v11
	v_fma_f32 v14, -v4, v13, v12
	s_delay_alu instid0(VALU_DEP_1) | instskip(NEXT) | instid1(VALU_DEP_1)
	v_fmac_f32_e32 v13, v14, v11
	v_fma_f32 v4, -v4, v13, v12
	s_delay_alu instid0(VALU_DEP_1) | instskip(NEXT) | instid1(VALU_DEP_1)
	v_div_fmas_f32 v4, v4, v11, v13
	v_div_fixup_f32 v2, v4, v5, v2
.LBB13_7:
	s_or_b32 exec_lo, exec_lo, s6
	v_cvt_f64_f32_e32 v[4:5], v6
	s_mov_b32 s7, 0x3fe55555
	s_mov_b32 s6, 0x55555555
	s_mov_b32 s0, 0x251e770f
	v_mov_b32_e32 v13, 0
	s_mov_b32 s8, 0x6b47b09a
	s_mov_b32 s10, 0xbf559e2b
	;; [unrolled: 1-line block ×4, first 2 shown]
	s_delay_alu instid0(VALU_DEP_2) | instskip(NEXT) | instid1(VALU_DEP_1)
	v_mul_f64 v[4:5], v[4:5], 0.5
	v_frexp_mant_f64_e32 v[11:12], v[4:5]
	s_delay_alu instid0(VALU_DEP_1) | instskip(SKIP_2) | instid1(VALU_DEP_1)
	v_cmp_gt_f64_e32 vcc_lo, s[6:7], v[11:12]
	s_mov_b32 s6, 0x55555780
	v_cndmask_b32_e64 v14, 0x3ff00000, 2.0, vcc_lo
	v_mul_f64 v[11:12], v[11:12], v[13:14]
	s_delay_alu instid0(VALU_DEP_1) | instskip(SKIP_1) | instid1(VALU_DEP_2)
	v_add_f64 v[13:14], v[11:12], 1.0
	v_add_f64 v[19:20], v[11:12], -1.0
	v_rcp_f64_e32 v[15:16], v[13:14]
	v_add_f64 v[21:22], v[13:14], -1.0
	s_delay_alu instid0(VALU_DEP_1) | instskip(SKIP_2) | instid1(VALU_DEP_1)
	v_add_f64 v[11:12], v[11:12], -v[21:22]
	s_waitcnt_depctr 0xfff
	v_fma_f64 v[17:18], -v[13:14], v[15:16], 1.0
	v_fma_f64 v[15:16], v[17:18], v[15:16], v[15:16]
	s_delay_alu instid0(VALU_DEP_1) | instskip(NEXT) | instid1(VALU_DEP_1)
	v_fma_f64 v[17:18], -v[13:14], v[15:16], 1.0
	v_fma_f64 v[15:16], v[17:18], v[15:16], v[15:16]
	s_delay_alu instid0(VALU_DEP_1) | instskip(NEXT) | instid1(VALU_DEP_1)
	v_mul_f64 v[17:18], v[19:20], v[15:16]
	v_mul_f64 v[23:24], v[13:14], v[17:18]
	s_delay_alu instid0(VALU_DEP_1) | instskip(NEXT) | instid1(VALU_DEP_1)
	v_fma_f64 v[13:14], v[17:18], v[13:14], -v[23:24]
	v_fma_f64 v[11:12], v[17:18], v[11:12], v[13:14]
	s_delay_alu instid0(VALU_DEP_1) | instskip(NEXT) | instid1(VALU_DEP_1)
	v_add_f64 v[13:14], v[23:24], v[11:12]
	v_add_f64 v[21:22], v[19:20], -v[13:14]
	v_add_f64 v[23:24], v[13:14], -v[23:24]
	s_delay_alu instid0(VALU_DEP_2) | instskip(NEXT) | instid1(VALU_DEP_2)
	v_add_f64 v[19:20], v[19:20], -v[21:22]
	v_add_f64 v[11:12], v[23:24], -v[11:12]
	v_frexp_exp_i32_f64_e32 v23, v[4:5]
	s_delay_alu instid0(VALU_DEP_3) | instskip(NEXT) | instid1(VALU_DEP_1)
	v_add_f64 v[13:14], v[19:20], -v[13:14]
	v_add_f64 v[11:12], v[11:12], v[13:14]
	s_delay_alu instid0(VALU_DEP_1) | instskip(NEXT) | instid1(VALU_DEP_1)
	v_add_f64 v[11:12], v[21:22], v[11:12]
	v_mul_f64 v[11:12], v[15:16], v[11:12]
	s_delay_alu instid0(VALU_DEP_1) | instskip(NEXT) | instid1(VALU_DEP_1)
	v_add_f64 v[13:14], v[17:18], v[11:12]
	v_mul_f64 v[15:16], v[13:14], v[13:14]
	s_delay_alu instid0(VALU_DEP_1) | instskip(SKIP_3) | instid1(VALU_DEP_2)
	v_fma_f64 v[19:20], v[15:16], s[10:11], s[8:9]
	s_mov_b32 s8, 0xd7f4df2e
	s_mov_b32 s9, 0x3fc7474d
	v_mul_f64 v[21:22], v[13:14], v[15:16]
	v_fma_f64 v[19:20], v[15:16], v[19:20], s[8:9]
	s_mov_b32 s8, 0x16291751
	s_mov_b32 s9, 0x3fcc71c0
	s_delay_alu instid0(VALU_DEP_1) | instid1(SALU_CYCLE_1)
	v_fma_f64 v[19:20], v[15:16], v[19:20], s[8:9]
	s_mov_b32 s8, 0x9b27acf1
	s_mov_b32 s9, 0x3fd24924
	s_delay_alu instid0(VALU_DEP_1) | instid1(SALU_CYCLE_1)
	;; [unrolled: 4-line block ×3, first 2 shown]
	v_fma_f64 v[19:20], v[15:16], v[19:20], s[8:9]
	s_delay_alu instid0(VALU_DEP_1) | instskip(SKIP_4) | instid1(VALU_DEP_3)
	v_fma_f64 v[15:16], v[15:16], v[19:20], s[6:7]
	v_ldexp_f64 v[19:20], v[13:14], 1
	v_add_f64 v[13:14], v[13:14], -v[17:18]
	s_mov_b32 s6, 0xfefa39ef
	s_mov_b32 s7, 0x3fe62e42
	v_mul_f64 v[15:16], v[21:22], v[15:16]
	v_subrev_co_ci_u32_e32 v21, vcc_lo, 0, v23, vcc_lo
	s_delay_alu instid0(VALU_DEP_3) | instskip(SKIP_1) | instid1(VALU_DEP_3)
	v_add_f64 v[11:12], v[11:12], -v[13:14]
	v_cmp_eq_f64_e32 vcc_lo, 0x7ff00000, v[4:5]
	v_cvt_f64_i32_e32 v[21:22], v21
	v_add_f64 v[17:18], v[19:20], v[15:16]
	s_delay_alu instid0(VALU_DEP_4) | instskip(NEXT) | instid1(VALU_DEP_3)
	v_ldexp_f64 v[11:12], v[11:12], 1
	v_mul_f64 v[23:24], v[21:22], s[6:7]
	s_delay_alu instid0(VALU_DEP_3) | instskip(NEXT) | instid1(VALU_DEP_2)
	v_add_f64 v[13:14], v[17:18], -v[19:20]
	v_fma_f64 v[19:20], v[21:22], s[6:7], -v[23:24]
	s_mov_b32 s6, 0x3b39803f
	s_mov_b32 s7, 0x3c7abc9e
	s_delay_alu instid0(VALU_DEP_2) | instskip(NEXT) | instid1(VALU_DEP_2)
	v_add_f64 v[13:14], v[15:16], -v[13:14]
	v_fma_f64 v[15:16], v[21:22], s[6:7], v[19:20]
	s_delay_alu instid0(VALU_DEP_2) | instskip(NEXT) | instid1(VALU_DEP_2)
	v_add_f64 v[11:12], v[11:12], v[13:14]
	v_add_f64 v[13:14], v[23:24], v[15:16]
	s_delay_alu instid0(VALU_DEP_2) | instskip(NEXT) | instid1(VALU_DEP_2)
	v_add_f64 v[19:20], v[17:18], v[11:12]
	v_add_f64 v[23:24], v[13:14], -v[23:24]
	s_delay_alu instid0(VALU_DEP_2) | instskip(SKIP_1) | instid1(VALU_DEP_3)
	v_add_f64 v[21:22], v[13:14], v[19:20]
	v_add_f64 v[17:18], v[19:20], -v[17:18]
	v_add_f64 v[15:16], v[15:16], -v[23:24]
	s_delay_alu instid0(VALU_DEP_3) | instskip(NEXT) | instid1(VALU_DEP_3)
	v_add_f64 v[25:26], v[21:22], -v[13:14]
	v_add_f64 v[11:12], v[11:12], -v[17:18]
	s_delay_alu instid0(VALU_DEP_2) | instskip(SKIP_1) | instid1(VALU_DEP_3)
	v_add_f64 v[27:28], v[21:22], -v[25:26]
	v_add_f64 v[17:18], v[19:20], -v[25:26]
	v_add_f64 v[19:20], v[15:16], v[11:12]
	s_delay_alu instid0(VALU_DEP_3) | instskip(NEXT) | instid1(VALU_DEP_1)
	v_add_f64 v[13:14], v[13:14], -v[27:28]
	v_add_f64 v[13:14], v[17:18], v[13:14]
	s_delay_alu instid0(VALU_DEP_3) | instskip(NEXT) | instid1(VALU_DEP_2)
	v_add_f64 v[17:18], v[19:20], -v[15:16]
	v_add_f64 v[13:14], v[19:20], v[13:14]
	s_delay_alu instid0(VALU_DEP_2) | instskip(SKIP_1) | instid1(VALU_DEP_3)
	v_add_f64 v[19:20], v[19:20], -v[17:18]
	v_add_f64 v[11:12], v[11:12], -v[17:18]
	v_add_f64 v[23:24], v[21:22], v[13:14]
	s_delay_alu instid0(VALU_DEP_3) | instskip(NEXT) | instid1(VALU_DEP_2)
	v_add_f64 v[15:16], v[15:16], -v[19:20]
	v_add_f64 v[17:18], v[23:24], -v[21:22]
	s_delay_alu instid0(VALU_DEP_2) | instskip(SKIP_1) | instid1(VALU_DEP_1)
	v_add_f64 v[11:12], v[11:12], v[15:16]
	v_fma_f32 v15, v6, v6, -2.0
	v_fmaak_f32 v16, s0, v15, 0x293fd856
	s_delay_alu instid0(VALU_DEP_4) | instskip(NEXT) | instid1(VALU_DEP_1)
	v_add_f64 v[13:14], v[13:14], -v[17:18]
	v_add_f64 v[11:12], v[11:12], v[13:14]
	s_delay_alu instid0(VALU_DEP_1) | instskip(NEXT) | instid1(VALU_DEP_4)
	v_add_f64 v[11:12], v[23:24], v[11:12]
	v_fmaak_f32 v17, v15, v16, 0xa51e770f
	s_delay_alu instid0(VALU_DEP_1) | instskip(NEXT) | instid1(VALU_DEP_1)
	v_add_f32_e32 v17, 0x2d3612e2, v17
	v_fma_f32 v13, v15, v17, -v16
	s_delay_alu instid0(VALU_DEP_1) | instskip(NEXT) | instid1(VALU_DEP_1)
	v_add_f32_e32 v13, 0x3102e09b, v13
	v_fma_f32 v14, v15, v13, -v17
	;; [unrolled: 3-line block ×7, first 2 shown]
	s_delay_alu instid0(VALU_DEP_1) | instskip(NEXT) | instid1(VALU_DEP_1)
	v_dual_cndmask_b32 v15, v11, v4 :: v_dual_add_f32 v14, 0xbf090b37, v14
	v_sub_f32_e32 v13, v14, v13
	v_cndmask_b32_e32 v14, v12, v5, vcc_lo
	v_cmp_neq_f64_e32 vcc_lo, 0, v[4:5]
	v_cvt_f64_f32_e32 v[11:12], v2
	s_delay_alu instid0(VALU_DEP_3) | instskip(NEXT) | instid1(VALU_DEP_1)
	v_dual_cndmask_b32 v14, 0xfff00000, v14 :: v_dual_mul_f32 v13, 0.5, v13
	v_cvt_f64_f32_e32 v[4:5], v13
	v_cndmask_b32_e32 v13, 0, v15, vcc_lo
	s_delay_alu instid0(VALU_DEP_1) | instskip(NEXT) | instid1(VALU_DEP_1)
	v_fma_f64 v[4:5], -v[13:14], v[11:12], v[4:5]
	v_cvt_f32_f64_e32 v2, v[4:5]
.LBB13_8:
	s_and_not1_saveexec_b32 s5, s5
	s_cbranch_execz .LBB13_10
; %bb.9:
	v_div_scale_f32 v2, null, v6, v6, 0x41000000
	v_div_scale_f32 v11, vcc_lo, 0x41000000, v6, 0x41000000
	s_mov_b32 s0, 0x22c38d2e
	s_delay_alu instid0(VALU_DEP_2) | instskip(SKIP_2) | instid1(VALU_DEP_1)
	v_rcp_f32_e32 v4, v2
	s_waitcnt_depctr 0xfff
	v_fma_f32 v5, -v2, v4, 1.0
	v_fmac_f32_e32 v4, v5, v4
	s_delay_alu instid0(VALU_DEP_1) | instskip(NEXT) | instid1(VALU_DEP_1)
	v_mul_f32_e32 v5, v11, v4
	v_fma_f32 v12, -v2, v5, v11
	s_delay_alu instid0(VALU_DEP_1) | instskip(NEXT) | instid1(VALU_DEP_1)
	v_dual_fmac_f32 v5, v12, v4 :: v_dual_mul_f32 v12, 0xbfb8aa3b, v6
	v_fma_f32 v2, -v2, v5, v11
	s_delay_alu instid0(VALU_DEP_2) | instskip(SKIP_2) | instid1(VALU_DEP_4)
	v_rndne_f32_e32 v13, v12
	v_fma_f32 v14, 0xbfb8aa3b, v6, -v12
	v_mul_f32_e32 v11, 0x4f800000, v6
	v_div_fmas_f32 v2, v2, v4, v5
	v_cmp_gt_f32_e32 vcc_lo, 0xf800000, v6
	s_delay_alu instid0(VALU_DEP_4) | instskip(SKIP_3) | instid1(VALU_DEP_3)
	v_fmamk_f32 v14, v6, 0xb2a5705f, v14
	v_sub_f32_e32 v12, v12, v13
	v_cvt_i32_f32_e32 v13, v13
	v_div_fixup_f32 v2, v2, v6, 0x41000000
	v_dual_cndmask_b32 v11, v6, v11 :: v_dual_add_f32 v12, v12, v14
	s_delay_alu instid0(VALU_DEP_2) | instskip(NEXT) | instid1(VALU_DEP_2)
	v_add_f32_e32 v2, -2.0, v2
	v_sqrt_f32_e32 v15, v11
	s_delay_alu instid0(VALU_DEP_2) | instskip(NEXT) | instid1(VALU_DEP_1)
	v_exp_f32_e32 v12, v12
	v_fmaak_f32 v4, s0, v2, 0xa397f665
	s_waitcnt_depctr 0xfff
	v_dual_fmaak_f32 v5, v2, v4, 0xa2c38d2e :: v_dual_add_nc_u32 v14, -1, v15
	s_delay_alu instid0(VALU_DEP_1) | instskip(NEXT) | instid1(VALU_DEP_2)
	v_dual_add_f32 v5, 0x24704972, v5 :: v_dual_add_nc_u32 v16, 1, v15
	v_fma_f32 v17, -v14, v15, v11
	s_delay_alu instid0(VALU_DEP_2) | instskip(NEXT) | instid1(VALU_DEP_3)
	v_fma_f32 v18, -v16, v15, v11
	v_fma_f32 v4, v2, v5, -v4
	s_delay_alu instid0(VALU_DEP_3) | instskip(NEXT) | instid1(VALU_DEP_2)
	v_cmp_ge_f32_e64 s0, 0, v17
	v_add_f32_e32 v4, 0xa5417ca4, v4
	s_delay_alu instid0(VALU_DEP_2) | instskip(SKIP_1) | instid1(VALU_DEP_3)
	v_cndmask_b32_e64 v14, v15, v14, s0
	v_cmp_lt_f32_e64 s0, 0, v18
	v_fma_f32 v5, v2, v4, -v5
	s_delay_alu instid0(VALU_DEP_1) | instskip(NEXT) | instid1(VALU_DEP_1)
	v_add_f32_e32 v5, 0x261edfcb, v5
	v_fma_f32 v4, v2, v5, -v4
	s_delay_alu instid0(VALU_DEP_1) | instskip(NEXT) | instid1(VALU_DEP_1)
	v_add_f32_e32 v4, 0xa7053487, v4
	;; [unrolled: 3-line block ×20, first 2 shown]
	v_fma_f32 v2, v2, v4, -v5
	v_ldexp_f32 v4, v12, v13
	v_cndmask_b32_e64 v12, v14, v16, s0
	v_cmp_nlt_f32_e64 s0, 0x42ce8ed0, v6
	s_delay_alu instid0(VALU_DEP_4) | instskip(NEXT) | instid1(VALU_DEP_3)
	v_add_f32_e32 v2, 0x401c2ded, v2
	v_mul_f32_e32 v13, 0x37800000, v12
	s_delay_alu instid0(VALU_DEP_3) | instskip(SKIP_1) | instid1(VALU_DEP_4)
	v_cndmask_b32_e64 v4, 0, v4, s0
	v_cmp_ngt_f32_e64 s0, 0xc2b17218, v6
	v_sub_f32_e32 v2, v2, v5
	s_delay_alu instid0(VALU_DEP_4) | instskip(SKIP_1) | instid1(VALU_DEP_4)
	v_cndmask_b32_e32 v5, v12, v13, vcc_lo
	v_cmp_class_f32_e64 vcc_lo, v11, 0x260
	v_cndmask_b32_e64 v4, 0x7f800000, v4, s0
	s_delay_alu instid0(VALU_DEP_3) | instskip(NEXT) | instid1(VALU_DEP_1)
	v_dual_mul_f32 v2, 0.5, v2 :: v_dual_cndmask_b32 v5, v5, v11
	v_mul_f32_e32 v2, v4, v2
	s_delay_alu instid0(VALU_DEP_1) | instskip(NEXT) | instid1(VALU_DEP_1)
	v_div_scale_f32 v4, null, v5, v5, v2
	v_rcp_f32_e32 v6, v4
	s_waitcnt_depctr 0xfff
	v_fma_f32 v11, -v4, v6, 1.0
	s_delay_alu instid0(VALU_DEP_1) | instskip(SKIP_1) | instid1(VALU_DEP_1)
	v_fmac_f32_e32 v6, v11, v6
	v_div_scale_f32 v11, vcc_lo, v2, v5, v2
	v_mul_f32_e32 v12, v11, v6
	s_delay_alu instid0(VALU_DEP_1) | instskip(NEXT) | instid1(VALU_DEP_1)
	v_fma_f32 v13, -v4, v12, v11
	v_fmac_f32_e32 v12, v13, v6
	s_delay_alu instid0(VALU_DEP_1) | instskip(NEXT) | instid1(VALU_DEP_1)
	v_fma_f32 v4, -v4, v12, v11
	v_div_fmas_f32 v4, v4, v6, v12
	s_delay_alu instid0(VALU_DEP_1)
	v_div_fixup_f32 v2, v4, v5, v2
.LBB13_10:
	s_or_b32 exec_lo, exec_lo, s5
.LBB13_11:
	s_delay_alu instid0(SALU_CYCLE_1)
	s_or_b32 exec_lo, exec_lo, s4
.LBB13_12:
	s_delay_alu instid0(SALU_CYCLE_1) | instskip(NEXT) | instid1(SALU_CYCLE_1)
	s_or_b32 exec_lo, exec_lo, s1
	s_mov_b32 s1, exec_lo
	v_cmpx_neq_f32_e32 0, v7
	s_cbranch_execz .LBB13_24
; %bb.13:
	v_mov_b32_e32 v3, 0x7fc00000
	s_mov_b32 s4, exec_lo
	v_cmpx_ngt_f32_e32 0, v7
	s_cbranch_execz .LBB13_23
; %bb.14:
	s_mov_b32 s0, exec_lo
	v_cmpx_ge_f32_e32 2.0, v7
	s_xor_b32 s5, exec_lo, s0
	s_cbranch_execz .LBB13_20
; %bb.15:
	v_mul_f32_e32 v4, 0x3fb8aa3b, v7
	s_mov_b32 s0, exec_lo
                                        ; implicit-def: $vgpr3
	v_cmpx_ge_f32_e32 0x41000000, v7
	s_xor_b32 s0, exec_lo, s0
	s_cbranch_execz .LBB13_17
; %bb.16:
	v_fma_f32 v3, v7, 0.5, -2.0
	v_rndne_f32_e32 v11, v4
	v_fma_f32 v12, 0x3fb8aa3b, v7, -v4
	s_mov_b32 s6, 0xa2a2e5b9
	v_cmp_ngt_f32_e32 vcc_lo, 0xc2ce8ed0, v7
	s_delay_alu instid0(VALU_DEP_3) | instskip(NEXT) | instid1(VALU_DEP_3)
	v_sub_f32_e32 v4, v4, v11
	v_fmamk_f32 v12, v7, 0x32a5705f, v12
	v_fmaak_f32 v5, s6, v3, 0x24199b15
	v_cvt_i32_f32_e32 v11, v11
	s_delay_alu instid0(VALU_DEP_3) | instskip(NEXT) | instid1(VALU_DEP_3)
	v_add_f32_e32 v4, v4, v12
	v_fmaak_f32 v6, v3, v5, 0x22a2e5b9
	s_delay_alu instid0(VALU_DEP_2) | instskip(NEXT) | instid1(VALU_DEP_1)
	v_exp_f32_e32 v4, v4
	v_add_f32_e32 v6, 0xa58c275c, v6
	s_delay_alu instid0(VALU_DEP_1) | instskip(SKIP_2) | instid1(VALU_DEP_1)
	v_fma_f32 v5, v3, v6, -v5
	s_waitcnt_depctr 0xfff
	v_ldexp_f32 v4, v4, v11
	v_dual_add_f32 v5, 0x26f736c5, v5 :: v_dual_cndmask_b32 v4, 0, v4
	s_delay_alu instid0(VALU_DEP_1) | instskip(SKIP_1) | instid1(VALU_DEP_3)
	v_fma_f32 v6, v3, v5, -v6
	v_cmp_nlt_f32_e32 vcc_lo, 0x42b17218, v7
	v_cndmask_b32_e32 v4, 0x7f800000, v4, vcc_lo
	s_delay_alu instid0(VALU_DEP_3) | instskip(NEXT) | instid1(VALU_DEP_1)
	v_add_f32_e32 v6, 0xa8528116, v6
	v_fma_f32 v5, v3, v6, -v5
	s_delay_alu instid0(VALU_DEP_1) | instskip(NEXT) | instid1(VALU_DEP_1)
	v_add_f32_e32 v5, 0x29acda32, v5
	v_fma_f32 v6, v3, v5, -v6
	s_delay_alu instid0(VALU_DEP_1) | instskip(NEXT) | instid1(VALU_DEP_1)
	;; [unrolled: 3-line block ×25, first 2 shown]
	v_add_f32_e32 v3, 0x3f2d4275, v3
	v_sub_f32_e32 v3, v3, v5
	s_delay_alu instid0(VALU_DEP_1) | instskip(NEXT) | instid1(VALU_DEP_1)
	v_mul_f32_e32 v3, 0.5, v3
	v_mul_f32_e32 v3, v4, v3
                                        ; implicit-def: $vgpr4
.LBB13_17:
	s_and_not1_saveexec_b32 s6, s0
	s_cbranch_execz .LBB13_19
; %bb.18:
	v_div_scale_f32 v3, null, v7, v7, 0x42000000
	v_div_scale_f32 v11, vcc_lo, 0x42000000, v7, 0x42000000
	s_mov_b32 s0, 0xa3056dbb
	s_delay_alu instid0(VALU_DEP_2) | instskip(SKIP_1) | instid1(VALU_DEP_1)
	v_rcp_f32_e32 v5, v3
	v_fma_f32 v13, 0x3fb8aa3b, v7, -v4
	v_fmamk_f32 v13, v7, 0x32a5705f, v13
	s_waitcnt_depctr 0xfff
	v_fma_f32 v6, -v3, v5, 1.0
	s_delay_alu instid0(VALU_DEP_1) | instskip(NEXT) | instid1(VALU_DEP_1)
	v_fmac_f32_e32 v5, v6, v5
	v_mul_f32_e32 v6, v11, v5
	s_delay_alu instid0(VALU_DEP_1) | instskip(NEXT) | instid1(VALU_DEP_1)
	v_fma_f32 v12, -v3, v6, v11
	v_fmac_f32_e32 v6, v12, v5
	v_rndne_f32_e32 v12, v4
	s_delay_alu instid0(VALU_DEP_2) | instskip(NEXT) | instid1(VALU_DEP_2)
	v_fma_f32 v3, -v3, v6, v11
	v_dual_mul_f32 v11, 0x4f800000, v7 :: v_dual_sub_f32 v4, v4, v12
	v_cvt_i32_f32_e32 v12, v12
	s_delay_alu instid0(VALU_DEP_3) | instskip(SKIP_1) | instid1(VALU_DEP_2)
	v_div_fmas_f32 v3, v3, v5, v6
	v_cmp_gt_f32_e32 vcc_lo, 0xf800000, v7
	v_div_fixup_f32 v3, v3, v7, 0x42000000
	v_cndmask_b32_e32 v11, v7, v11, vcc_lo
	s_delay_alu instid0(VALU_DEP_2) | instskip(NEXT) | instid1(VALU_DEP_2)
	v_add_f32_e32 v3, -2.0, v3
	v_sqrt_f32_e32 v14, v11
	s_delay_alu instid0(VALU_DEP_1) | instskip(SKIP_4) | instid1(VALU_DEP_2)
	v_dual_add_f32 v4, v4, v13 :: v_dual_fmaak_f32 v5, s0, v3, 0xa2b236d3
	s_waitcnt_depctr 0xfff
	v_dual_fmaak_f32 v6, v3, v5, 0x23056dbb :: v_dual_add_nc_u32 v13, -1, v14
	v_add_nc_u32_e32 v15, 1, v14
	v_exp_f32_e32 v4, v4
	v_add_f32_e32 v6, 0x244df0c1, v6
	s_delay_alu instid0(VALU_DEP_1) | instskip(SKIP_3) | instid1(VALU_DEP_1)
	v_fma_f32 v5, v3, v6, -v5
	s_waitcnt_depctr 0xfff
	v_ldexp_f32 v4, v4, v12
	v_add_f32_e32 v5, 0x241f9ee8, v5
	v_fma_f32 v6, v3, v5, -v6
	s_delay_alu instid0(VALU_DEP_1) | instskip(NEXT) | instid1(VALU_DEP_1)
	v_add_f32_e32 v6, 0xa5a3005d, v6
	v_fma_f32 v5, v3, v6, -v5
	s_delay_alu instid0(VALU_DEP_1) | instskip(NEXT) | instid1(VALU_DEP_1)
	;; [unrolled: 3-line block ×18, first 2 shown]
	v_add_f32_e32 v5, 0x3642095e, v5
	v_fma_f32 v6, v3, v5, -v6
	s_delay_alu instid0(VALU_DEP_1) | instskip(SKIP_2) | instid1(VALU_DEP_3)
	v_add_f32_e32 v6, 0x38907d1c, v6
	v_fma_f32 v16, -v13, v14, v11
	v_fma_f32 v17, -v15, v14, v11
	v_fma_f32 v5, v3, v6, -v5
	s_delay_alu instid0(VALU_DEP_3) | instskip(NEXT) | instid1(VALU_DEP_2)
	v_cmp_ge_f32_e64 s0, 0, v16
	v_add_f32_e32 v5, 0x3b5ccc65, v5
	s_delay_alu instid0(VALU_DEP_2) | instskip(SKIP_1) | instid1(VALU_DEP_3)
	v_cndmask_b32_e64 v13, v14, v13, s0
	v_cmp_lt_f32_e64 s0, 0, v17
	v_fma_f32 v3, v3, v5, -v6
	s_delay_alu instid0(VALU_DEP_2) | instskip(SKIP_1) | instid1(VALU_DEP_3)
	v_cndmask_b32_e64 v5, v13, v15, s0
	v_cmp_ngt_f32_e64 s0, 0xc2ce8ed0, v7
	v_add_f32_e32 v3, 0x3f4df315, v3
	s_delay_alu instid0(VALU_DEP_3) | instskip(NEXT) | instid1(VALU_DEP_3)
	v_mul_f32_e32 v12, 0x37800000, v5
	v_cndmask_b32_e64 v4, 0, v4, s0
	v_cmp_nlt_f32_e64 s0, 0x42b17218, v7
	s_delay_alu instid0(VALU_DEP_4) | instskip(NEXT) | instid1(VALU_DEP_4)
	v_sub_f32_e32 v3, v3, v6
	v_cndmask_b32_e32 v5, v5, v12, vcc_lo
	v_cmp_class_f32_e64 vcc_lo, v11, 0x260
	s_delay_alu instid0(VALU_DEP_4) | instskip(NEXT) | instid1(VALU_DEP_4)
	v_cndmask_b32_e64 v4, 0x7f800000, v4, s0
	v_mul_f32_e32 v3, 0.5, v3
	s_delay_alu instid0(VALU_DEP_4) | instskip(NEXT) | instid1(VALU_DEP_2)
	v_cndmask_b32_e32 v5, v5, v11, vcc_lo
	v_mul_f32_e32 v3, v4, v3
	s_delay_alu instid0(VALU_DEP_1) | instskip(NEXT) | instid1(VALU_DEP_1)
	v_div_scale_f32 v4, null, v5, v5, v3
	v_rcp_f32_e32 v6, v4
	s_waitcnt_depctr 0xfff
	v_fma_f32 v11, -v4, v6, 1.0
	s_delay_alu instid0(VALU_DEP_1) | instskip(SKIP_1) | instid1(VALU_DEP_1)
	v_fmac_f32_e32 v6, v11, v6
	v_div_scale_f32 v11, vcc_lo, v3, v5, v3
	v_mul_f32_e32 v12, v11, v6
	s_delay_alu instid0(VALU_DEP_1) | instskip(NEXT) | instid1(VALU_DEP_1)
	v_fma_f32 v13, -v4, v12, v11
	v_fmac_f32_e32 v12, v13, v6
	s_delay_alu instid0(VALU_DEP_1) | instskip(NEXT) | instid1(VALU_DEP_1)
	v_fma_f32 v4, -v4, v12, v11
	v_div_fmas_f32 v4, v4, v6, v12
	s_delay_alu instid0(VALU_DEP_1)
	v_div_fixup_f32 v3, v4, v5, v3
.LBB13_19:
	s_or_b32 exec_lo, exec_lo, s6
	v_cvt_f64_f32_e32 v[4:5], v7
	s_mov_b32 s7, 0x3fe55555
	s_mov_b32 s6, 0x55555555
	v_mov_b32_e32 v13, 0
	s_mov_b32 s8, 0x6b47b09a
	s_mov_b32 s10, 0xbf559e2b
	;; [unrolled: 1-line block ×5, first 2 shown]
	s_delay_alu instid0(VALU_DEP_2) | instskip(NEXT) | instid1(VALU_DEP_1)
	v_mul_f64 v[4:5], v[4:5], 0.5
	v_frexp_mant_f64_e32 v[11:12], v[4:5]
	v_frexp_exp_i32_f64_e32 v6, v[4:5]
	s_delay_alu instid0(VALU_DEP_2) | instskip(SKIP_2) | instid1(VALU_DEP_3)
	v_cmp_gt_f64_e32 vcc_lo, s[6:7], v[11:12]
	s_mov_b32 s6, 0x55555780
	v_cndmask_b32_e64 v14, 0x3ff00000, 2.0, vcc_lo
	v_subrev_co_ci_u32_e32 v6, vcc_lo, 0, v6, vcc_lo
	v_cmp_eq_f64_e32 vcc_lo, 0x7ff00000, v[4:5]
	s_delay_alu instid0(VALU_DEP_3) | instskip(NEXT) | instid1(VALU_DEP_1)
	v_mul_f64 v[11:12], v[11:12], v[13:14]
	v_add_f64 v[13:14], v[11:12], 1.0
	v_add_f64 v[19:20], v[11:12], -1.0
	s_delay_alu instid0(VALU_DEP_2) | instskip(SKIP_1) | instid1(VALU_DEP_1)
	v_rcp_f64_e32 v[15:16], v[13:14]
	v_add_f64 v[21:22], v[13:14], -1.0
	v_add_f64 v[11:12], v[11:12], -v[21:22]
	s_waitcnt_depctr 0xfff
	v_fma_f64 v[17:18], -v[13:14], v[15:16], 1.0
	s_delay_alu instid0(VALU_DEP_1) | instskip(NEXT) | instid1(VALU_DEP_1)
	v_fma_f64 v[15:16], v[17:18], v[15:16], v[15:16]
	v_fma_f64 v[17:18], -v[13:14], v[15:16], 1.0
	s_delay_alu instid0(VALU_DEP_1) | instskip(NEXT) | instid1(VALU_DEP_1)
	v_fma_f64 v[15:16], v[17:18], v[15:16], v[15:16]
	v_mul_f64 v[17:18], v[19:20], v[15:16]
	s_delay_alu instid0(VALU_DEP_1) | instskip(NEXT) | instid1(VALU_DEP_1)
	v_mul_f64 v[23:24], v[13:14], v[17:18]
	v_fma_f64 v[13:14], v[17:18], v[13:14], -v[23:24]
	s_delay_alu instid0(VALU_DEP_1) | instskip(NEXT) | instid1(VALU_DEP_1)
	v_fma_f64 v[11:12], v[17:18], v[11:12], v[13:14]
	v_add_f64 v[13:14], v[23:24], v[11:12]
	s_delay_alu instid0(VALU_DEP_1) | instskip(SKIP_1) | instid1(VALU_DEP_2)
	v_add_f64 v[21:22], v[19:20], -v[13:14]
	v_add_f64 v[23:24], v[13:14], -v[23:24]
	;; [unrolled: 1-line block ×3, first 2 shown]
	s_delay_alu instid0(VALU_DEP_2) | instskip(NEXT) | instid1(VALU_DEP_2)
	v_add_f64 v[11:12], v[23:24], -v[11:12]
	v_add_f64 v[13:14], v[19:20], -v[13:14]
	s_delay_alu instid0(VALU_DEP_1) | instskip(NEXT) | instid1(VALU_DEP_1)
	v_add_f64 v[11:12], v[11:12], v[13:14]
	v_add_f64 v[11:12], v[21:22], v[11:12]
	s_delay_alu instid0(VALU_DEP_1) | instskip(NEXT) | instid1(VALU_DEP_1)
	v_mul_f64 v[11:12], v[15:16], v[11:12]
	v_add_f64 v[13:14], v[17:18], v[11:12]
	s_delay_alu instid0(VALU_DEP_1) | instskip(NEXT) | instid1(VALU_DEP_1)
	v_mul_f64 v[15:16], v[13:14], v[13:14]
	v_fma_f64 v[19:20], v[15:16], s[10:11], s[8:9]
	s_mov_b32 s8, 0xd7f4df2e
	s_mov_b32 s9, 0x3fc7474d
	v_mul_f64 v[21:22], v[13:14], v[15:16]
	s_delay_alu instid0(VALU_DEP_2)
	v_fma_f64 v[19:20], v[15:16], v[19:20], s[8:9]
	s_mov_b32 s8, 0x16291751
	s_mov_b32 s9, 0x3fcc71c0
	s_delay_alu instid0(VALU_DEP_1) | instid1(SALU_CYCLE_1)
	v_fma_f64 v[19:20], v[15:16], v[19:20], s[8:9]
	s_mov_b32 s8, 0x9b27acf1
	s_mov_b32 s9, 0x3fd24924
	s_delay_alu instid0(VALU_DEP_1) | instid1(SALU_CYCLE_1)
	;; [unrolled: 4-line block ×3, first 2 shown]
	v_fma_f64 v[19:20], v[15:16], v[19:20], s[8:9]
	s_delay_alu instid0(VALU_DEP_1) | instskip(SKIP_4) | instid1(VALU_DEP_3)
	v_fma_f64 v[15:16], v[15:16], v[19:20], s[6:7]
	v_ldexp_f64 v[19:20], v[13:14], 1
	v_add_f64 v[13:14], v[13:14], -v[17:18]
	s_mov_b32 s6, 0xfefa39ef
	s_mov_b32 s7, 0x3fe62e42
	v_mul_f64 v[15:16], v[21:22], v[15:16]
	v_cvt_f64_i32_e32 v[21:22], v6
	s_delay_alu instid0(VALU_DEP_3) | instskip(SKIP_1) | instid1(VALU_DEP_4)
	v_add_f64 v[11:12], v[11:12], -v[13:14]
	v_fma_f32 v6, v7, v7, -2.0
	v_add_f64 v[17:18], v[19:20], v[15:16]
	s_delay_alu instid0(VALU_DEP_4) | instskip(NEXT) | instid1(VALU_DEP_4)
	v_mul_f64 v[23:24], v[21:22], s[6:7]
	v_ldexp_f64 v[11:12], v[11:12], 1
	s_delay_alu instid0(VALU_DEP_3) | instskip(NEXT) | instid1(VALU_DEP_3)
	v_add_f64 v[13:14], v[17:18], -v[19:20]
	v_fma_f64 v[19:20], v[21:22], s[6:7], -v[23:24]
	s_mov_b32 s6, 0x3b39803f
	s_mov_b32 s7, 0x3c7abc9e
	s_delay_alu instid0(VALU_DEP_2) | instskip(NEXT) | instid1(VALU_DEP_2)
	v_add_f64 v[13:14], v[15:16], -v[13:14]
	v_fma_f64 v[15:16], v[21:22], s[6:7], v[19:20]
	s_delay_alu instid0(VALU_DEP_2) | instskip(NEXT) | instid1(VALU_DEP_2)
	v_add_f64 v[11:12], v[11:12], v[13:14]
	v_add_f64 v[13:14], v[23:24], v[15:16]
	s_delay_alu instid0(VALU_DEP_2) | instskip(NEXT) | instid1(VALU_DEP_2)
	v_add_f64 v[19:20], v[17:18], v[11:12]
	v_add_f64 v[23:24], v[13:14], -v[23:24]
	s_delay_alu instid0(VALU_DEP_2) | instskip(SKIP_1) | instid1(VALU_DEP_3)
	v_add_f64 v[21:22], v[13:14], v[19:20]
	v_add_f64 v[17:18], v[19:20], -v[17:18]
	v_add_f64 v[15:16], v[15:16], -v[23:24]
	s_delay_alu instid0(VALU_DEP_3) | instskip(NEXT) | instid1(VALU_DEP_3)
	v_add_f64 v[25:26], v[21:22], -v[13:14]
	v_add_f64 v[11:12], v[11:12], -v[17:18]
	s_delay_alu instid0(VALU_DEP_2) | instskip(SKIP_1) | instid1(VALU_DEP_3)
	v_add_f64 v[27:28], v[21:22], -v[25:26]
	v_add_f64 v[17:18], v[19:20], -v[25:26]
	v_add_f64 v[19:20], v[15:16], v[11:12]
	s_delay_alu instid0(VALU_DEP_3) | instskip(NEXT) | instid1(VALU_DEP_1)
	v_add_f64 v[13:14], v[13:14], -v[27:28]
	v_add_f64 v[13:14], v[17:18], v[13:14]
	s_delay_alu instid0(VALU_DEP_3) | instskip(NEXT) | instid1(VALU_DEP_2)
	v_add_f64 v[17:18], v[19:20], -v[15:16]
	v_add_f64 v[13:14], v[19:20], v[13:14]
	s_delay_alu instid0(VALU_DEP_2) | instskip(SKIP_1) | instid1(VALU_DEP_3)
	v_add_f64 v[19:20], v[19:20], -v[17:18]
	v_add_f64 v[11:12], v[11:12], -v[17:18]
	v_add_f64 v[23:24], v[21:22], v[13:14]
	s_delay_alu instid0(VALU_DEP_3) | instskip(NEXT) | instid1(VALU_DEP_2)
	v_add_f64 v[15:16], v[15:16], -v[19:20]
	v_add_f64 v[17:18], v[23:24], -v[21:22]
	s_delay_alu instid0(VALU_DEP_2) | instskip(SKIP_1) | instid1(VALU_DEP_1)
	v_add_f64 v[11:12], v[11:12], v[15:16]
	v_fmaak_f32 v15, s0, v6, 0x293fd856
	v_fmaak_f32 v16, v6, v15, 0xa51e770f
	s_delay_alu instid0(VALU_DEP_1) | instskip(SKIP_1) | instid1(VALU_DEP_1)
	v_add_f32_e32 v16, 0x2d3612e2, v16
	v_add_f64 v[13:14], v[13:14], -v[17:18]
	v_add_f64 v[11:12], v[11:12], v[13:14]
	s_delay_alu instid0(VALU_DEP_3) | instskip(NEXT) | instid1(VALU_DEP_1)
	v_fma_f32 v13, v6, v16, -v15
	v_add_f32_e32 v13, 0x3102e09b, v13
	s_delay_alu instid0(VALU_DEP_1) | instskip(NEXT) | instid1(VALU_DEP_4)
	v_fma_f32 v14, v6, v13, -v16
	v_add_f64 v[11:12], v[23:24], v[11:12]
	s_delay_alu instid0(VALU_DEP_2) | instskip(NEXT) | instid1(VALU_DEP_1)
	v_add_f32_e32 v14, 0x348815e7, v14
	v_fma_f32 v13, v6, v14, -v13
	s_delay_alu instid0(VALU_DEP_1) | instskip(NEXT) | instid1(VALU_DEP_1)
	v_add_f32_e32 v13, 0x37bfc808, v13
	v_fma_f32 v14, v6, v13, -v14
	s_delay_alu instid0(VALU_DEP_1) | instskip(NEXT) | instid1(VALU_DEP_1)
	;; [unrolled: 3-line block ×4, first 2 shown]
	v_add_f32_e32 v14, 0x3eb046c4, v14
	v_fma_f32 v6, v6, v14, -v13
	v_cndmask_b32_e32 v14, v12, v5, vcc_lo
	s_delay_alu instid0(VALU_DEP_2) | instskip(NEXT) | instid1(VALU_DEP_1)
	v_add_f32_e32 v6, 0xbf090b37, v6
	v_dual_sub_f32 v6, v6, v13 :: v_dual_cndmask_b32 v13, v11, v4
	v_cmp_neq_f64_e32 vcc_lo, 0, v[4:5]
	v_cvt_f64_f32_e32 v[11:12], v3
	s_delay_alu instid0(VALU_DEP_3) | instskip(NEXT) | instid1(VALU_DEP_1)
	v_mul_f32_e32 v6, 0.5, v6
	v_cvt_f64_f32_e32 v[4:5], v6
	v_cndmask_b32_e32 v14, 0xfff00000, v14, vcc_lo
	v_cndmask_b32_e32 v13, 0, v13, vcc_lo
	s_delay_alu instid0(VALU_DEP_1) | instskip(NEXT) | instid1(VALU_DEP_1)
	v_fma_f64 v[3:4], -v[13:14], v[11:12], v[4:5]
	v_cvt_f32_f64_e32 v3, v[3:4]
.LBB13_20:
	s_and_not1_saveexec_b32 s5, s5
	s_cbranch_execz .LBB13_22
; %bb.21:
	v_div_scale_f32 v3, null, v7, v7, 0x41000000
	v_div_scale_f32 v6, vcc_lo, 0x41000000, v7, 0x41000000
	s_mov_b32 s0, 0x22c38d2e
	s_delay_alu instid0(VALU_DEP_2) | instskip(SKIP_2) | instid1(VALU_DEP_1)
	v_rcp_f32_e32 v4, v3
	s_waitcnt_depctr 0xfff
	v_fma_f32 v5, -v3, v4, 1.0
	v_fmac_f32_e32 v4, v5, v4
	s_delay_alu instid0(VALU_DEP_1) | instskip(NEXT) | instid1(VALU_DEP_1)
	v_mul_f32_e32 v5, v6, v4
	v_fma_f32 v11, -v3, v5, v6
	s_delay_alu instid0(VALU_DEP_1) | instskip(SKIP_1) | instid1(VALU_DEP_2)
	v_fmac_f32_e32 v5, v11, v4
	v_mul_f32_e32 v11, 0xbfb8aa3b, v7
	v_fma_f32 v3, -v3, v5, v6
	v_mul_f32_e32 v6, 0x4f800000, v7
	s_delay_alu instid0(VALU_DEP_3) | instskip(SKIP_1) | instid1(VALU_DEP_4)
	v_rndne_f32_e32 v12, v11
	v_fma_f32 v13, 0xbfb8aa3b, v7, -v11
	v_div_fmas_f32 v3, v3, v4, v5
	v_cmp_gt_f32_e32 vcc_lo, 0xf800000, v7
	s_delay_alu instid0(VALU_DEP_4) | instskip(NEXT) | instid1(VALU_DEP_4)
	v_sub_f32_e32 v11, v11, v12
	v_fmamk_f32 v13, v7, 0xb2a5705f, v13
	v_cvt_i32_f32_e32 v12, v12
	v_div_fixup_f32 v3, v3, v7, 0x41000000
	v_cndmask_b32_e32 v6, v7, v6, vcc_lo
	s_delay_alu instid0(VALU_DEP_4) | instskip(NEXT) | instid1(VALU_DEP_3)
	v_add_f32_e32 v11, v11, v13
	v_add_f32_e32 v3, -2.0, v3
	s_delay_alu instid0(VALU_DEP_3) | instskip(NEXT) | instid1(VALU_DEP_2)
	v_sqrt_f32_e32 v14, v6
	v_exp_f32_e32 v11, v11
	s_delay_alu instid0(VALU_DEP_1) | instskip(NEXT) | instid1(VALU_DEP_1)
	v_fmaak_f32 v4, s0, v3, 0xa397f665
	v_fmaak_f32 v5, v3, v4, 0xa2c38d2e
	s_waitcnt_depctr 0xfff
	v_add_nc_u32_e32 v13, -1, v14
	v_add_nc_u32_e32 v15, 1, v14
	v_add_f32_e32 v5, 0x24704972, v5
	s_delay_alu instid0(VALU_DEP_3) | instskip(NEXT) | instid1(VALU_DEP_3)
	v_fma_f32 v16, -v13, v14, v6
	v_fma_f32 v17, -v15, v14, v6
	s_delay_alu instid0(VALU_DEP_3) | instskip(NEXT) | instid1(VALU_DEP_3)
	v_fma_f32 v4, v3, v5, -v4
	v_cmp_ge_f32_e64 s0, 0, v16
	s_delay_alu instid0(VALU_DEP_2) | instskip(NEXT) | instid1(VALU_DEP_2)
	v_add_f32_e32 v4, 0xa5417ca4, v4
	v_cndmask_b32_e64 v13, v14, v13, s0
	v_cmp_lt_f32_e64 s0, 0, v17
	s_delay_alu instid0(VALU_DEP_3) | instskip(NEXT) | instid1(VALU_DEP_1)
	v_fma_f32 v5, v3, v4, -v5
	v_add_f32_e32 v5, 0x261edfcb, v5
	s_delay_alu instid0(VALU_DEP_1) | instskip(NEXT) | instid1(VALU_DEP_1)
	v_fma_f32 v4, v3, v5, -v4
	v_add_f32_e32 v4, 0xa7053487, v4
	s_delay_alu instid0(VALU_DEP_1) | instskip(NEXT) | instid1(VALU_DEP_1)
	;; [unrolled: 3-line block ×19, first 2 shown]
	v_fma_f32 v4, v3, v5, -v4
	v_add_f32_e32 v4, 0xbd00cfb9, v4
	s_delay_alu instid0(VALU_DEP_1) | instskip(SKIP_3) | instid1(VALU_DEP_4)
	v_fma_f32 v3, v3, v4, -v5
	v_ldexp_f32 v4, v11, v12
	v_cndmask_b32_e64 v11, v13, v15, s0
	v_cmp_nlt_f32_e64 s0, 0x42ce8ed0, v7
	v_add_f32_e32 v3, 0x401c2ded, v3
	s_delay_alu instid0(VALU_DEP_3) | instskip(NEXT) | instid1(VALU_DEP_3)
	v_mul_f32_e32 v12, 0x37800000, v11
	v_cndmask_b32_e64 v4, 0, v4, s0
	v_cmp_ngt_f32_e64 s0, 0xc2b17218, v7
	s_delay_alu instid0(VALU_DEP_4) | instskip(NEXT) | instid1(VALU_DEP_4)
	v_sub_f32_e32 v3, v3, v5
	v_cndmask_b32_e32 v5, v11, v12, vcc_lo
	v_cmp_class_f32_e64 vcc_lo, v6, 0x260
	s_delay_alu instid0(VALU_DEP_4) | instskip(NEXT) | instid1(VALU_DEP_4)
	v_cndmask_b32_e64 v4, 0x7f800000, v4, s0
	v_mul_f32_e32 v3, 0.5, v3
	s_delay_alu instid0(VALU_DEP_4) | instskip(NEXT) | instid1(VALU_DEP_2)
	v_cndmask_b32_e32 v5, v5, v6, vcc_lo
	v_mul_f32_e32 v3, v4, v3
	s_delay_alu instid0(VALU_DEP_1) | instskip(NEXT) | instid1(VALU_DEP_1)
	v_div_scale_f32 v4, null, v5, v5, v3
	v_rcp_f32_e32 v6, v4
	s_waitcnt_depctr 0xfff
	v_fma_f32 v7, -v4, v6, 1.0
	s_delay_alu instid0(VALU_DEP_1) | instskip(SKIP_1) | instid1(VALU_DEP_1)
	v_fmac_f32_e32 v6, v7, v6
	v_div_scale_f32 v7, vcc_lo, v3, v5, v3
	v_mul_f32_e32 v11, v7, v6
	s_delay_alu instid0(VALU_DEP_1) | instskip(NEXT) | instid1(VALU_DEP_1)
	v_fma_f32 v12, -v4, v11, v7
	v_fmac_f32_e32 v11, v12, v6
	s_delay_alu instid0(VALU_DEP_1) | instskip(NEXT) | instid1(VALU_DEP_1)
	v_fma_f32 v4, -v4, v11, v7
	v_div_fmas_f32 v4, v4, v6, v11
	s_delay_alu instid0(VALU_DEP_1)
	v_div_fixup_f32 v3, v4, v5, v3
.LBB13_22:
	s_or_b32 exec_lo, exec_lo, s5
.LBB13_23:
	s_delay_alu instid0(SALU_CYCLE_1)
	s_or_b32 exec_lo, exec_lo, s4
.LBB13_24:
	s_delay_alu instid0(SALU_CYCLE_1)
	s_or_b32 exec_lo, exec_lo, s1
	v_dual_mov_b32 v5, 0x7f800000 :: v_dual_mov_b32 v4, 0x7f800000
	s_mov_b32 s1, exec_lo
	v_cmpx_neq_f32_e32 0, v8
	s_cbranch_execz .LBB13_36
; %bb.25:
	v_mov_b32_e32 v4, 0x7fc00000
	s_mov_b32 s4, exec_lo
	v_cmpx_ngt_f32_e32 0, v8
	s_cbranch_execz .LBB13_35
; %bb.26:
	s_mov_b32 s0, exec_lo
	v_cmpx_ge_f32_e32 2.0, v8
	s_xor_b32 s5, exec_lo, s0
	s_cbranch_execz .LBB13_32
; %bb.27:
	v_mul_f32_e32 v6, 0x3fb8aa3b, v8
	s_mov_b32 s0, exec_lo
                                        ; implicit-def: $vgpr4
	v_cmpx_ge_f32_e32 0x41000000, v8
	s_xor_b32 s0, exec_lo, s0
	s_cbranch_execz .LBB13_29
; %bb.28:
	v_rndne_f32_e32 v12, v6
	v_fma_f32 v13, 0x3fb8aa3b, v8, -v6
	v_fma_f32 v4, v8, 0.5, -2.0
	s_mov_b32 s6, 0xa2a2e5b9
	v_cmp_ngt_f32_e32 vcc_lo, 0xc2ce8ed0, v8
	s_delay_alu instid0(VALU_DEP_3) | instskip(NEXT) | instid1(VALU_DEP_3)
	v_dual_sub_f32 v6, v6, v12 :: v_dual_fmamk_f32 v13, v8, 0x32a5705f, v13
	v_fmaak_f32 v7, s6, v4, 0x24199b15
	v_cvt_i32_f32_e32 v12, v12
	s_delay_alu instid0(VALU_DEP_3) | instskip(NEXT) | instid1(VALU_DEP_1)
	v_add_f32_e32 v6, v6, v13
	v_exp_f32_e32 v6, v6
	s_waitcnt_depctr 0xfff
	v_ldexp_f32 v6, v6, v12
	s_delay_alu instid0(VALU_DEP_1) | instskip(NEXT) | instid1(VALU_DEP_1)
	v_dual_fmaak_f32 v11, v4, v7, 0x22a2e5b9 :: v_dual_cndmask_b32 v6, 0, v6
	v_add_f32_e32 v11, 0xa58c275c, v11
	v_cmp_nlt_f32_e32 vcc_lo, 0x42b17218, v8
	s_delay_alu instid0(VALU_DEP_2) | instskip(NEXT) | instid1(VALU_DEP_4)
	v_fma_f32 v7, v4, v11, -v7
	v_cndmask_b32_e32 v6, 0x7f800000, v6, vcc_lo
	s_delay_alu instid0(VALU_DEP_2) | instskip(NEXT) | instid1(VALU_DEP_1)
	v_add_f32_e32 v7, 0x26f736c5, v7
	v_fma_f32 v11, v4, v7, -v11
	s_delay_alu instid0(VALU_DEP_1) | instskip(NEXT) | instid1(VALU_DEP_1)
	v_add_f32_e32 v11, 0xa8528116, v11
	v_fma_f32 v7, v4, v11, -v7
	s_delay_alu instid0(VALU_DEP_1) | instskip(NEXT) | instid1(VALU_DEP_1)
	;; [unrolled: 3-line block ×26, first 2 shown]
	v_add_f32_e32 v4, 0x3f2d4275, v4
	v_sub_f32_e32 v4, v4, v7
	s_delay_alu instid0(VALU_DEP_1) | instskip(NEXT) | instid1(VALU_DEP_1)
	v_mul_f32_e32 v4, 0.5, v4
	v_mul_f32_e32 v4, v6, v4
                                        ; implicit-def: $vgpr6
.LBB13_29:
	s_and_not1_saveexec_b32 s6, s0
	s_cbranch_execz .LBB13_31
; %bb.30:
	v_div_scale_f32 v4, null, v8, v8, 0x42000000
	v_div_scale_f32 v12, vcc_lo, 0x42000000, v8, 0x42000000
	s_mov_b32 s0, 0xa3056dbb
	s_delay_alu instid0(VALU_DEP_2) | instskip(SKIP_3) | instid1(VALU_DEP_1)
	v_rcp_f32_e32 v7, v4
	v_fma_f32 v14, 0x3fb8aa3b, v8, -v6
	s_waitcnt_depctr 0xfff
	v_fma_f32 v11, -v4, v7, 1.0
	v_fmac_f32_e32 v7, v11, v7
	s_delay_alu instid0(VALU_DEP_1) | instskip(NEXT) | instid1(VALU_DEP_1)
	v_mul_f32_e32 v11, v12, v7
	v_fma_f32 v13, -v4, v11, v12
	s_delay_alu instid0(VALU_DEP_1) | instskip(SKIP_1) | instid1(VALU_DEP_2)
	v_fmac_f32_e32 v11, v13, v7
	v_rndne_f32_e32 v13, v6
	v_fma_f32 v4, -v4, v11, v12
	v_mul_f32_e32 v12, 0x4f800000, v8
	s_delay_alu instid0(VALU_DEP_3) | instskip(SKIP_1) | instid1(VALU_DEP_4)
	v_sub_f32_e32 v6, v6, v13
	v_cvt_i32_f32_e32 v13, v13
	v_div_fmas_f32 v4, v4, v7, v11
	v_cmp_gt_f32_e32 vcc_lo, 0xf800000, v8
	v_fmamk_f32 v14, v8, 0x32a5705f, v14
	s_delay_alu instid0(VALU_DEP_3) | instskip(SKIP_1) | instid1(VALU_DEP_3)
	v_div_fixup_f32 v4, v4, v8, 0x42000000
	v_cndmask_b32_e32 v12, v8, v12, vcc_lo
	v_add_f32_e32 v6, v6, v14
	s_delay_alu instid0(VALU_DEP_3) | instskip(NEXT) | instid1(VALU_DEP_3)
	v_add_f32_e32 v4, -2.0, v4
	v_sqrt_f32_e32 v15, v12
	s_delay_alu instid0(VALU_DEP_2) | instskip(NEXT) | instid1(VALU_DEP_1)
	v_exp_f32_e32 v6, v6
	v_fmaak_f32 v7, s0, v4, 0xa2b236d3
	s_delay_alu instid0(VALU_DEP_1)
	v_fmaak_f32 v11, v4, v7, 0x23056dbb
	s_waitcnt_depctr 0xfff
	v_add_nc_u32_e32 v14, -1, v15
	v_add_nc_u32_e32 v16, 1, v15
	v_ldexp_f32 v6, v6, v13
	v_add_f32_e32 v11, 0x244df0c1, v11
	s_delay_alu instid0(VALU_DEP_4) | instskip(NEXT) | instid1(VALU_DEP_4)
	v_fma_f32 v17, -v14, v15, v12
	v_fma_f32 v18, -v16, v15, v12
	s_delay_alu instid0(VALU_DEP_3) | instskip(NEXT) | instid1(VALU_DEP_3)
	v_fma_f32 v7, v4, v11, -v7
	v_cmp_ge_f32_e64 s0, 0, v17
	s_delay_alu instid0(VALU_DEP_2) | instskip(NEXT) | instid1(VALU_DEP_2)
	v_add_f32_e32 v7, 0x241f9ee8, v7
	v_cndmask_b32_e64 v14, v15, v14, s0
	v_cmp_lt_f32_e64 s0, 0, v18
	s_delay_alu instid0(VALU_DEP_3) | instskip(NEXT) | instid1(VALU_DEP_1)
	v_fma_f32 v11, v4, v7, -v11
	v_add_f32_e32 v11, 0xa5a3005d, v11
	s_delay_alu instid0(VALU_DEP_1) | instskip(NEXT) | instid1(VALU_DEP_1)
	v_fma_f32 v7, v4, v11, -v7
	v_add_f32_e32 v7, 0xa5c5773f, v7
	s_delay_alu instid0(VALU_DEP_1) | instskip(NEXT) | instid1(VALU_DEP_1)
	;; [unrolled: 3-line block ×19, first 2 shown]
	v_fma_f32 v7, v4, v11, -v7
	v_add_f32_e32 v7, 0x3b5ccc65, v7
	s_delay_alu instid0(VALU_DEP_1) | instskip(SKIP_2) | instid1(VALU_DEP_3)
	v_fma_f32 v4, v4, v7, -v11
	v_cndmask_b32_e64 v7, v14, v16, s0
	v_cmp_ngt_f32_e64 s0, 0xc2ce8ed0, v8
	v_add_f32_e32 v4, 0x3f4df315, v4
	s_delay_alu instid0(VALU_DEP_3) | instskip(NEXT) | instid1(VALU_DEP_3)
	v_mul_f32_e32 v13, 0x37800000, v7
	v_cndmask_b32_e64 v6, 0, v6, s0
	v_cmp_nlt_f32_e64 s0, 0x42b17218, v8
	s_delay_alu instid0(VALU_DEP_3) | instskip(SKIP_1) | instid1(VALU_DEP_3)
	v_dual_sub_f32 v4, v4, v11 :: v_dual_cndmask_b32 v7, v7, v13
	v_cmp_class_f32_e64 vcc_lo, v12, 0x260
	v_cndmask_b32_e64 v6, 0x7f800000, v6, s0
	s_delay_alu instid0(VALU_DEP_3) | instskip(NEXT) | instid1(VALU_DEP_4)
	v_mul_f32_e32 v4, 0.5, v4
	v_cndmask_b32_e32 v7, v7, v12, vcc_lo
	s_delay_alu instid0(VALU_DEP_2) | instskip(NEXT) | instid1(VALU_DEP_1)
	v_mul_f32_e32 v4, v6, v4
	v_div_scale_f32 v6, null, v7, v7, v4
	s_delay_alu instid0(VALU_DEP_1) | instskip(SKIP_2) | instid1(VALU_DEP_1)
	v_rcp_f32_e32 v11, v6
	s_waitcnt_depctr 0xfff
	v_fma_f32 v12, -v6, v11, 1.0
	v_fmac_f32_e32 v11, v12, v11
	v_div_scale_f32 v12, vcc_lo, v4, v7, v4
	s_delay_alu instid0(VALU_DEP_1) | instskip(NEXT) | instid1(VALU_DEP_1)
	v_mul_f32_e32 v13, v12, v11
	v_fma_f32 v14, -v6, v13, v12
	s_delay_alu instid0(VALU_DEP_1) | instskip(NEXT) | instid1(VALU_DEP_1)
	v_fmac_f32_e32 v13, v14, v11
	v_fma_f32 v6, -v6, v13, v12
	s_delay_alu instid0(VALU_DEP_1) | instskip(NEXT) | instid1(VALU_DEP_1)
	v_div_fmas_f32 v6, v6, v11, v13
	v_div_fixup_f32 v4, v6, v7, v4
.LBB13_31:
	s_or_b32 exec_lo, exec_lo, s6
	v_cvt_f64_f32_e32 v[6:7], v8
	s_mov_b32 s7, 0x3fe55555
	s_mov_b32 s6, 0x55555555
	;; [unrolled: 1-line block ×3, first 2 shown]
	v_mov_b32_e32 v13, 0
	s_mov_b32 s8, 0x6b47b09a
	s_mov_b32 s10, 0xbf559e2b
	;; [unrolled: 1-line block ×4, first 2 shown]
	s_delay_alu instid0(VALU_DEP_2) | instskip(NEXT) | instid1(VALU_DEP_1)
	v_mul_f64 v[6:7], v[6:7], 0.5
	v_frexp_mant_f64_e32 v[11:12], v[6:7]
	s_delay_alu instid0(VALU_DEP_1) | instskip(SKIP_2) | instid1(VALU_DEP_1)
	v_cmp_gt_f64_e32 vcc_lo, s[6:7], v[11:12]
	s_mov_b32 s6, 0x55555780
	v_cndmask_b32_e64 v14, 0x3ff00000, 2.0, vcc_lo
	v_mul_f64 v[11:12], v[11:12], v[13:14]
	s_delay_alu instid0(VALU_DEP_1) | instskip(SKIP_1) | instid1(VALU_DEP_2)
	v_add_f64 v[13:14], v[11:12], 1.0
	v_add_f64 v[19:20], v[11:12], -1.0
	v_rcp_f64_e32 v[15:16], v[13:14]
	v_add_f64 v[21:22], v[13:14], -1.0
	s_delay_alu instid0(VALU_DEP_1) | instskip(SKIP_2) | instid1(VALU_DEP_1)
	v_add_f64 v[11:12], v[11:12], -v[21:22]
	s_waitcnt_depctr 0xfff
	v_fma_f64 v[17:18], -v[13:14], v[15:16], 1.0
	v_fma_f64 v[15:16], v[17:18], v[15:16], v[15:16]
	s_delay_alu instid0(VALU_DEP_1) | instskip(NEXT) | instid1(VALU_DEP_1)
	v_fma_f64 v[17:18], -v[13:14], v[15:16], 1.0
	v_fma_f64 v[15:16], v[17:18], v[15:16], v[15:16]
	s_delay_alu instid0(VALU_DEP_1) | instskip(NEXT) | instid1(VALU_DEP_1)
	v_mul_f64 v[17:18], v[19:20], v[15:16]
	v_mul_f64 v[23:24], v[13:14], v[17:18]
	s_delay_alu instid0(VALU_DEP_1) | instskip(NEXT) | instid1(VALU_DEP_1)
	v_fma_f64 v[13:14], v[17:18], v[13:14], -v[23:24]
	v_fma_f64 v[11:12], v[17:18], v[11:12], v[13:14]
	s_delay_alu instid0(VALU_DEP_1) | instskip(NEXT) | instid1(VALU_DEP_1)
	v_add_f64 v[13:14], v[23:24], v[11:12]
	v_add_f64 v[21:22], v[19:20], -v[13:14]
	v_add_f64 v[23:24], v[13:14], -v[23:24]
	s_delay_alu instid0(VALU_DEP_2) | instskip(NEXT) | instid1(VALU_DEP_2)
	v_add_f64 v[19:20], v[19:20], -v[21:22]
	v_add_f64 v[11:12], v[23:24], -v[11:12]
	v_frexp_exp_i32_f64_e32 v23, v[6:7]
	s_delay_alu instid0(VALU_DEP_3) | instskip(NEXT) | instid1(VALU_DEP_1)
	v_add_f64 v[13:14], v[19:20], -v[13:14]
	v_add_f64 v[11:12], v[11:12], v[13:14]
	s_delay_alu instid0(VALU_DEP_1) | instskip(NEXT) | instid1(VALU_DEP_1)
	v_add_f64 v[11:12], v[21:22], v[11:12]
	v_mul_f64 v[11:12], v[15:16], v[11:12]
	s_delay_alu instid0(VALU_DEP_1) | instskip(NEXT) | instid1(VALU_DEP_1)
	v_add_f64 v[13:14], v[17:18], v[11:12]
	v_mul_f64 v[15:16], v[13:14], v[13:14]
	s_delay_alu instid0(VALU_DEP_1) | instskip(SKIP_3) | instid1(VALU_DEP_2)
	v_fma_f64 v[19:20], v[15:16], s[10:11], s[8:9]
	s_mov_b32 s8, 0xd7f4df2e
	s_mov_b32 s9, 0x3fc7474d
	v_mul_f64 v[21:22], v[13:14], v[15:16]
	v_fma_f64 v[19:20], v[15:16], v[19:20], s[8:9]
	s_mov_b32 s8, 0x16291751
	s_mov_b32 s9, 0x3fcc71c0
	s_delay_alu instid0(VALU_DEP_1) | instid1(SALU_CYCLE_1)
	v_fma_f64 v[19:20], v[15:16], v[19:20], s[8:9]
	s_mov_b32 s8, 0x9b27acf1
	s_mov_b32 s9, 0x3fd24924
	s_delay_alu instid0(VALU_DEP_1) | instid1(SALU_CYCLE_1)
	;; [unrolled: 4-line block ×3, first 2 shown]
	v_fma_f64 v[19:20], v[15:16], v[19:20], s[8:9]
	s_delay_alu instid0(VALU_DEP_1) | instskip(SKIP_4) | instid1(VALU_DEP_3)
	v_fma_f64 v[15:16], v[15:16], v[19:20], s[6:7]
	v_ldexp_f64 v[19:20], v[13:14], 1
	v_add_f64 v[13:14], v[13:14], -v[17:18]
	s_mov_b32 s6, 0xfefa39ef
	s_mov_b32 s7, 0x3fe62e42
	v_mul_f64 v[15:16], v[21:22], v[15:16]
	v_subrev_co_ci_u32_e32 v21, vcc_lo, 0, v23, vcc_lo
	s_delay_alu instid0(VALU_DEP_3) | instskip(SKIP_1) | instid1(VALU_DEP_3)
	v_add_f64 v[11:12], v[11:12], -v[13:14]
	v_cmp_eq_f64_e32 vcc_lo, 0x7ff00000, v[6:7]
	v_cvt_f64_i32_e32 v[21:22], v21
	v_add_f64 v[17:18], v[19:20], v[15:16]
	s_delay_alu instid0(VALU_DEP_4) | instskip(NEXT) | instid1(VALU_DEP_3)
	v_ldexp_f64 v[11:12], v[11:12], 1
	v_mul_f64 v[23:24], v[21:22], s[6:7]
	s_delay_alu instid0(VALU_DEP_3) | instskip(NEXT) | instid1(VALU_DEP_2)
	v_add_f64 v[13:14], v[17:18], -v[19:20]
	v_fma_f64 v[19:20], v[21:22], s[6:7], -v[23:24]
	s_mov_b32 s6, 0x3b39803f
	s_mov_b32 s7, 0x3c7abc9e
	s_delay_alu instid0(VALU_DEP_2) | instskip(NEXT) | instid1(VALU_DEP_2)
	v_add_f64 v[13:14], v[15:16], -v[13:14]
	v_fma_f64 v[15:16], v[21:22], s[6:7], v[19:20]
	s_delay_alu instid0(VALU_DEP_2) | instskip(NEXT) | instid1(VALU_DEP_2)
	v_add_f64 v[11:12], v[11:12], v[13:14]
	v_add_f64 v[13:14], v[23:24], v[15:16]
	s_delay_alu instid0(VALU_DEP_2) | instskip(NEXT) | instid1(VALU_DEP_2)
	v_add_f64 v[19:20], v[17:18], v[11:12]
	v_add_f64 v[23:24], v[13:14], -v[23:24]
	s_delay_alu instid0(VALU_DEP_2) | instskip(SKIP_1) | instid1(VALU_DEP_3)
	v_add_f64 v[21:22], v[13:14], v[19:20]
	v_add_f64 v[17:18], v[19:20], -v[17:18]
	v_add_f64 v[15:16], v[15:16], -v[23:24]
	s_delay_alu instid0(VALU_DEP_3) | instskip(NEXT) | instid1(VALU_DEP_3)
	v_add_f64 v[25:26], v[21:22], -v[13:14]
	v_add_f64 v[11:12], v[11:12], -v[17:18]
	s_delay_alu instid0(VALU_DEP_2) | instskip(SKIP_1) | instid1(VALU_DEP_3)
	v_add_f64 v[27:28], v[21:22], -v[25:26]
	v_add_f64 v[17:18], v[19:20], -v[25:26]
	v_add_f64 v[19:20], v[15:16], v[11:12]
	s_delay_alu instid0(VALU_DEP_3) | instskip(NEXT) | instid1(VALU_DEP_1)
	v_add_f64 v[13:14], v[13:14], -v[27:28]
	v_add_f64 v[13:14], v[17:18], v[13:14]
	s_delay_alu instid0(VALU_DEP_3) | instskip(NEXT) | instid1(VALU_DEP_2)
	v_add_f64 v[17:18], v[19:20], -v[15:16]
	v_add_f64 v[13:14], v[19:20], v[13:14]
	s_delay_alu instid0(VALU_DEP_2) | instskip(SKIP_1) | instid1(VALU_DEP_3)
	v_add_f64 v[19:20], v[19:20], -v[17:18]
	v_add_f64 v[11:12], v[11:12], -v[17:18]
	v_add_f64 v[23:24], v[21:22], v[13:14]
	s_delay_alu instid0(VALU_DEP_3) | instskip(NEXT) | instid1(VALU_DEP_2)
	v_add_f64 v[15:16], v[15:16], -v[19:20]
	v_add_f64 v[17:18], v[23:24], -v[21:22]
	s_delay_alu instid0(VALU_DEP_2) | instskip(SKIP_1) | instid1(VALU_DEP_1)
	v_add_f64 v[11:12], v[11:12], v[15:16]
	v_fma_f32 v15, v8, v8, -2.0
	v_fmaak_f32 v16, s0, v15, 0x293fd856
	s_delay_alu instid0(VALU_DEP_4) | instskip(NEXT) | instid1(VALU_DEP_1)
	v_add_f64 v[13:14], v[13:14], -v[17:18]
	v_add_f64 v[11:12], v[11:12], v[13:14]
	s_delay_alu instid0(VALU_DEP_1) | instskip(NEXT) | instid1(VALU_DEP_4)
	v_add_f64 v[11:12], v[23:24], v[11:12]
	v_fmaak_f32 v17, v15, v16, 0xa51e770f
	s_delay_alu instid0(VALU_DEP_1) | instskip(NEXT) | instid1(VALU_DEP_1)
	v_add_f32_e32 v17, 0x2d3612e2, v17
	v_fma_f32 v13, v15, v17, -v16
	s_delay_alu instid0(VALU_DEP_1) | instskip(NEXT) | instid1(VALU_DEP_1)
	v_add_f32_e32 v13, 0x3102e09b, v13
	v_fma_f32 v14, v15, v13, -v17
	;; [unrolled: 3-line block ×7, first 2 shown]
	v_cndmask_b32_e32 v15, v11, v6, vcc_lo
	s_delay_alu instid0(VALU_DEP_2) | instskip(NEXT) | instid1(VALU_DEP_1)
	v_add_f32_e32 v14, 0xbf090b37, v14
	v_dual_sub_f32 v13, v14, v13 :: v_dual_cndmask_b32 v14, v12, v7
	v_cmp_neq_f64_e32 vcc_lo, 0, v[6:7]
	v_cvt_f64_f32_e32 v[11:12], v4
	s_delay_alu instid0(VALU_DEP_3) | instskip(NEXT) | instid1(VALU_DEP_1)
	v_dual_cndmask_b32 v14, 0xfff00000, v14 :: v_dual_mul_f32 v13, 0.5, v13
	v_cvt_f64_f32_e32 v[6:7], v13
	v_cndmask_b32_e32 v13, 0, v15, vcc_lo
	s_delay_alu instid0(VALU_DEP_1) | instskip(NEXT) | instid1(VALU_DEP_1)
	v_fma_f64 v[6:7], -v[13:14], v[11:12], v[6:7]
	v_cvt_f32_f64_e32 v4, v[6:7]
.LBB13_32:
	s_and_not1_saveexec_b32 s5, s5
	s_cbranch_execz .LBB13_34
; %bb.33:
	v_div_scale_f32 v4, null, v8, v8, 0x41000000
	v_div_scale_f32 v11, vcc_lo, 0x41000000, v8, 0x41000000
	s_mov_b32 s0, 0x22c38d2e
	s_delay_alu instid0(VALU_DEP_2) | instskip(SKIP_2) | instid1(VALU_DEP_1)
	v_rcp_f32_e32 v6, v4
	s_waitcnt_depctr 0xfff
	v_fma_f32 v7, -v4, v6, 1.0
	v_fmac_f32_e32 v6, v7, v6
	s_delay_alu instid0(VALU_DEP_1) | instskip(NEXT) | instid1(VALU_DEP_1)
	v_mul_f32_e32 v7, v11, v6
	v_fma_f32 v12, -v4, v7, v11
	s_delay_alu instid0(VALU_DEP_1) | instskip(NEXT) | instid1(VALU_DEP_1)
	v_fmac_f32_e32 v7, v12, v6
	v_fma_f32 v4, -v4, v7, v11
	s_delay_alu instid0(VALU_DEP_1) | instskip(SKIP_2) | instid1(VALU_DEP_3)
	v_div_fmas_f32 v4, v4, v6, v7
	v_cmp_gt_f32_e32 vcc_lo, 0xf800000, v8
	v_mul_f32_e32 v12, 0xbfb8aa3b, v8
	v_div_fixup_f32 v4, v4, v8, 0x41000000
	s_delay_alu instid0(VALU_DEP_2) | instskip(SKIP_2) | instid1(VALU_DEP_4)
	v_rndne_f32_e32 v13, v12
	v_mul_f32_e32 v11, 0x4f800000, v8
	v_fma_f32 v14, 0xbfb8aa3b, v8, -v12
	v_add_f32_e32 v4, -2.0, v4
	s_delay_alu instid0(VALU_DEP_4) | instskip(NEXT) | instid1(VALU_DEP_4)
	v_sub_f32_e32 v12, v12, v13
	v_cndmask_b32_e32 v11, v8, v11, vcc_lo
	s_delay_alu instid0(VALU_DEP_4) | instskip(NEXT) | instid1(VALU_DEP_4)
	v_fmamk_f32 v14, v8, 0xb2a5705f, v14
	v_fmaak_f32 v6, s0, v4, 0xa397f665
	v_cvt_i32_f32_e32 v13, v13
	s_delay_alu instid0(VALU_DEP_4) | instskip(NEXT) | instid1(VALU_DEP_3)
	v_sqrt_f32_e32 v15, v11
	v_add_f32_e32 v12, v12, v14
	s_delay_alu instid0(VALU_DEP_3) | instskip(NEXT) | instid1(VALU_DEP_2)
	v_fmaak_f32 v7, v4, v6, 0xa2c38d2e
	v_exp_f32_e32 v12, v12
	s_waitcnt_depctr 0xfff
	v_add_nc_u32_e32 v14, -1, v15
	v_add_f32_e32 v7, 0x24704972, v7
	v_add_nc_u32_e32 v16, 1, v15
	s_delay_alu instid0(VALU_DEP_3) | instskip(NEXT) | instid1(VALU_DEP_3)
	v_fma_f32 v17, -v14, v15, v11
	v_fma_f32 v6, v4, v7, -v6
	s_delay_alu instid0(VALU_DEP_3) | instskip(NEXT) | instid1(VALU_DEP_3)
	v_fma_f32 v18, -v16, v15, v11
	v_cmp_ge_f32_e64 s0, 0, v17
	s_delay_alu instid0(VALU_DEP_3) | instskip(NEXT) | instid1(VALU_DEP_2)
	v_add_f32_e32 v6, 0xa5417ca4, v6
	v_cndmask_b32_e64 v14, v15, v14, s0
	s_delay_alu instid0(VALU_DEP_2) | instskip(SKIP_1) | instid1(VALU_DEP_2)
	v_fma_f32 v7, v4, v6, -v7
	v_cmp_lt_f32_e64 s0, 0, v18
	v_add_f32_e32 v7, 0x261edfcb, v7
	s_delay_alu instid0(VALU_DEP_1) | instskip(NEXT) | instid1(VALU_DEP_1)
	v_fma_f32 v6, v4, v7, -v6
	v_add_f32_e32 v6, 0xa7053487, v6
	s_delay_alu instid0(VALU_DEP_1) | instskip(NEXT) | instid1(VALU_DEP_1)
	v_fma_f32 v7, v4, v6, -v7
	;; [unrolled: 3-line block ×19, first 2 shown]
	v_add_f32_e32 v6, 0xbd00cfb9, v6
	s_delay_alu instid0(VALU_DEP_1) | instskip(SKIP_3) | instid1(VALU_DEP_4)
	v_fma_f32 v4, v4, v6, -v7
	v_ldexp_f32 v6, v12, v13
	v_cndmask_b32_e64 v12, v14, v16, s0
	v_cmp_nlt_f32_e64 s0, 0x42ce8ed0, v8
	v_add_f32_e32 v4, 0x401c2ded, v4
	s_delay_alu instid0(VALU_DEP_3) | instskip(NEXT) | instid1(VALU_DEP_3)
	v_mul_f32_e32 v13, 0x37800000, v12
	v_cndmask_b32_e64 v6, 0, v6, s0
	v_cmp_ngt_f32_e64 s0, 0xc2b17218, v8
	s_delay_alu instid0(VALU_DEP_4) | instskip(NEXT) | instid1(VALU_DEP_4)
	v_sub_f32_e32 v4, v4, v7
	v_cndmask_b32_e32 v7, v12, v13, vcc_lo
	v_cmp_class_f32_e64 vcc_lo, v11, 0x260
	s_delay_alu instid0(VALU_DEP_4) | instskip(NEXT) | instid1(VALU_DEP_3)
	v_cndmask_b32_e64 v6, 0x7f800000, v6, s0
	v_dual_mul_f32 v4, 0.5, v4 :: v_dual_cndmask_b32 v7, v7, v11
	s_delay_alu instid0(VALU_DEP_1) | instskip(NEXT) | instid1(VALU_DEP_1)
	v_mul_f32_e32 v4, v6, v4
	v_div_scale_f32 v6, null, v7, v7, v4
	s_delay_alu instid0(VALU_DEP_1) | instskip(SKIP_2) | instid1(VALU_DEP_1)
	v_rcp_f32_e32 v8, v6
	s_waitcnt_depctr 0xfff
	v_fma_f32 v11, -v6, v8, 1.0
	v_fmac_f32_e32 v8, v11, v8
	v_div_scale_f32 v11, vcc_lo, v4, v7, v4
	s_delay_alu instid0(VALU_DEP_1) | instskip(NEXT) | instid1(VALU_DEP_1)
	v_mul_f32_e32 v12, v11, v8
	v_fma_f32 v13, -v6, v12, v11
	s_delay_alu instid0(VALU_DEP_1) | instskip(NEXT) | instid1(VALU_DEP_1)
	v_fmac_f32_e32 v12, v13, v8
	v_fma_f32 v6, -v6, v12, v11
	s_delay_alu instid0(VALU_DEP_1) | instskip(NEXT) | instid1(VALU_DEP_1)
	v_div_fmas_f32 v6, v6, v8, v12
	v_div_fixup_f32 v4, v6, v7, v4
.LBB13_34:
	s_or_b32 exec_lo, exec_lo, s5
.LBB13_35:
	s_delay_alu instid0(SALU_CYCLE_1)
	s_or_b32 exec_lo, exec_lo, s4
.LBB13_36:
	s_delay_alu instid0(SALU_CYCLE_1) | instskip(NEXT) | instid1(SALU_CYCLE_1)
	s_or_b32 exec_lo, exec_lo, s1
	s_mov_b32 s1, exec_lo
	v_cmpx_neq_f32_e32 0, v9
	s_cbranch_execz .LBB13_48
; %bb.37:
	v_mov_b32_e32 v5, 0x7fc00000
	s_mov_b32 s4, exec_lo
	v_cmpx_ngt_f32_e32 0, v9
	s_cbranch_execz .LBB13_47
; %bb.38:
	s_mov_b32 s0, exec_lo
	v_cmpx_ge_f32_e32 2.0, v9
	s_xor_b32 s5, exec_lo, s0
	s_cbranch_execz .LBB13_44
; %bb.39:
	v_mul_f32_e32 v6, 0x3fb8aa3b, v9
	s_mov_b32 s0, exec_lo
                                        ; implicit-def: $vgpr5
	v_cmpx_ge_f32_e32 0x41000000, v9
	s_xor_b32 s0, exec_lo, s0
	s_cbranch_execz .LBB13_41
; %bb.40:
	v_fma_f32 v5, v9, 0.5, -2.0
	s_mov_b32 s6, 0xa2a2e5b9
	v_rndne_f32_e32 v11, v6
	v_fma_f32 v12, 0x3fb8aa3b, v9, -v6
	v_cmp_ngt_f32_e32 vcc_lo, 0xc2ce8ed0, v9
	s_delay_alu instid0(VALU_DEP_3) | instskip(NEXT) | instid1(VALU_DEP_3)
	v_dual_fmaak_f32 v7, s6, v5, 0x24199b15 :: v_dual_sub_f32 v6, v6, v11
	v_fmamk_f32 v12, v9, 0x32a5705f, v12
	v_cvt_i32_f32_e32 v11, v11
	s_delay_alu instid0(VALU_DEP_3) | instskip(NEXT) | instid1(VALU_DEP_3)
	v_fmaak_f32 v8, v5, v7, 0x22a2e5b9
	v_add_f32_e32 v6, v6, v12
	s_delay_alu instid0(VALU_DEP_2) | instskip(NEXT) | instid1(VALU_DEP_2)
	v_add_f32_e32 v8, 0xa58c275c, v8
	v_exp_f32_e32 v6, v6
	s_delay_alu instid0(VALU_DEP_1) | instskip(NEXT) | instid1(VALU_DEP_1)
	v_fma_f32 v7, v5, v8, -v7
	v_add_f32_e32 v7, 0x26f736c5, v7
	s_waitcnt_depctr 0xfff
	v_ldexp_f32 v6, v6, v11
	v_fma_f32 v8, v5, v7, -v8
	s_delay_alu instid0(VALU_DEP_2) | instskip(SKIP_1) | instid1(VALU_DEP_2)
	v_cndmask_b32_e32 v6, 0, v6, vcc_lo
	v_cmp_nlt_f32_e32 vcc_lo, 0x42b17218, v9
	v_cndmask_b32_e32 v6, 0x7f800000, v6, vcc_lo
	s_delay_alu instid0(VALU_DEP_4) | instskip(NEXT) | instid1(VALU_DEP_1)
	v_add_f32_e32 v8, 0xa8528116, v8
	v_fma_f32 v7, v5, v8, -v7
	s_delay_alu instid0(VALU_DEP_1) | instskip(NEXT) | instid1(VALU_DEP_1)
	v_add_f32_e32 v7, 0x29acda32, v7
	v_fma_f32 v8, v5, v7, -v8
	s_delay_alu instid0(VALU_DEP_1) | instskip(NEXT) | instid1(VALU_DEP_1)
	;; [unrolled: 3-line block ×25, first 2 shown]
	v_add_f32_e32 v5, 0x3f2d4275, v5
	v_sub_f32_e32 v5, v5, v7
	s_delay_alu instid0(VALU_DEP_1) | instskip(NEXT) | instid1(VALU_DEP_1)
	v_mul_f32_e32 v5, 0.5, v5
	v_mul_f32_e32 v5, v6, v5
                                        ; implicit-def: $vgpr6
.LBB13_41:
	s_and_not1_saveexec_b32 s6, s0
	s_cbranch_execz .LBB13_43
; %bb.42:
	v_div_scale_f32 v5, null, v9, v9, 0x42000000
	v_div_scale_f32 v11, vcc_lo, 0x42000000, v9, 0x42000000
	s_mov_b32 s0, 0xa3056dbb
	s_delay_alu instid0(VALU_DEP_2) | instskip(SKIP_1) | instid1(VALU_DEP_1)
	v_rcp_f32_e32 v7, v5
	v_fma_f32 v13, 0x3fb8aa3b, v9, -v6
	v_fmamk_f32 v13, v9, 0x32a5705f, v13
	s_waitcnt_depctr 0xfff
	v_fma_f32 v8, -v5, v7, 1.0
	s_delay_alu instid0(VALU_DEP_1) | instskip(NEXT) | instid1(VALU_DEP_1)
	v_fmac_f32_e32 v7, v8, v7
	v_mul_f32_e32 v8, v11, v7
	s_delay_alu instid0(VALU_DEP_1) | instskip(NEXT) | instid1(VALU_DEP_1)
	v_fma_f32 v12, -v5, v8, v11
	v_fmac_f32_e32 v8, v12, v7
	v_rndne_f32_e32 v12, v6
	s_delay_alu instid0(VALU_DEP_2) | instskip(NEXT) | instid1(VALU_DEP_2)
	v_fma_f32 v5, -v5, v8, v11
	v_dual_mul_f32 v11, 0x4f800000, v9 :: v_dual_sub_f32 v6, v6, v12
	v_cvt_i32_f32_e32 v12, v12
	s_delay_alu instid0(VALU_DEP_3) | instskip(SKIP_1) | instid1(VALU_DEP_4)
	v_div_fmas_f32 v5, v5, v7, v8
	v_cmp_gt_f32_e32 vcc_lo, 0xf800000, v9
	v_add_f32_e32 v6, v6, v13
	s_delay_alu instid0(VALU_DEP_3) | instskip(SKIP_1) | instid1(VALU_DEP_2)
	v_div_fixup_f32 v5, v5, v9, 0x42000000
	v_cndmask_b32_e32 v11, v9, v11, vcc_lo
	v_add_f32_e32 v5, -2.0, v5
	s_delay_alu instid0(VALU_DEP_2) | instskip(NEXT) | instid1(VALU_DEP_1)
	v_sqrt_f32_e32 v14, v11
	v_fmaak_f32 v7, s0, v5, 0xa2b236d3
	s_waitcnt_depctr 0xfff
	v_dual_fmaak_f32 v8, v5, v7, 0x23056dbb :: v_dual_add_nc_u32 v13, -1, v14
	s_delay_alu instid0(VALU_DEP_1) | instskip(NEXT) | instid1(VALU_DEP_1)
	v_dual_add_f32 v8, 0x244df0c1, v8 :: v_dual_add_nc_u32 v15, 1, v14
	v_fma_f32 v7, v5, v8, -v7
	s_delay_alu instid0(VALU_DEP_1) | instskip(NEXT) | instid1(VALU_DEP_1)
	v_add_f32_e32 v7, 0x241f9ee8, v7
	v_fma_f32 v8, v5, v7, -v8
	s_delay_alu instid0(VALU_DEP_1) | instskip(NEXT) | instid1(VALU_DEP_1)
	v_add_f32_e32 v8, 0xa5a3005d, v8
	;; [unrolled: 3-line block ×19, first 2 shown]
	v_fma_f32 v8, v5, v7, -v8
	s_delay_alu instid0(VALU_DEP_1) | instskip(SKIP_2) | instid1(VALU_DEP_3)
	v_add_f32_e32 v8, 0x38907d1c, v8
	v_fma_f32 v16, -v13, v14, v11
	v_fma_f32 v17, -v15, v14, v11
	v_fma_f32 v7, v5, v8, -v7
	s_delay_alu instid0(VALU_DEP_3) | instskip(NEXT) | instid1(VALU_DEP_2)
	v_cmp_ge_f32_e64 s0, 0, v16
	v_add_f32_e32 v7, 0x3b5ccc65, v7
	v_exp_f32_e32 v6, v6
	s_delay_alu instid0(VALU_DEP_2) | instskip(SKIP_1) | instid1(VALU_DEP_3)
	v_cndmask_b32_e64 v13, v14, v13, s0
	v_cmp_lt_f32_e64 s0, 0, v17
	v_fma_f32 v5, v5, v7, -v8
	s_delay_alu instid0(VALU_DEP_2) | instskip(SKIP_1) | instid1(VALU_DEP_3)
	v_cndmask_b32_e64 v7, v13, v15, s0
	v_cmp_ngt_f32_e64 s0, 0xc2ce8ed0, v9
	v_add_f32_e32 v5, 0x3f4df315, v5
	s_delay_alu instid0(TRANS32_DEP_1) | instskip(NEXT) | instid1(VALU_DEP_2)
	v_ldexp_f32 v6, v6, v12
	v_dual_mul_f32 v12, 0x37800000, v7 :: v_dual_sub_f32 v5, v5, v8
	s_delay_alu instid0(VALU_DEP_2) | instskip(SKIP_1) | instid1(VALU_DEP_3)
	v_cndmask_b32_e64 v6, 0, v6, s0
	v_cmp_nlt_f32_e64 s0, 0x42b17218, v9
	v_cndmask_b32_e32 v7, v7, v12, vcc_lo
	v_cmp_class_f32_e64 vcc_lo, v11, 0x260
	v_mul_f32_e32 v5, 0.5, v5
	s_delay_alu instid0(VALU_DEP_4) | instskip(NEXT) | instid1(VALU_DEP_4)
	v_cndmask_b32_e64 v6, 0x7f800000, v6, s0
	v_cndmask_b32_e32 v7, v7, v11, vcc_lo
	s_delay_alu instid0(VALU_DEP_2) | instskip(NEXT) | instid1(VALU_DEP_1)
	v_mul_f32_e32 v5, v6, v5
	v_div_scale_f32 v6, null, v7, v7, v5
	s_delay_alu instid0(VALU_DEP_1) | instskip(SKIP_2) | instid1(VALU_DEP_1)
	v_rcp_f32_e32 v8, v6
	s_waitcnt_depctr 0xfff
	v_fma_f32 v11, -v6, v8, 1.0
	v_fmac_f32_e32 v8, v11, v8
	v_div_scale_f32 v11, vcc_lo, v5, v7, v5
	s_delay_alu instid0(VALU_DEP_1) | instskip(NEXT) | instid1(VALU_DEP_1)
	v_mul_f32_e32 v12, v11, v8
	v_fma_f32 v13, -v6, v12, v11
	s_delay_alu instid0(VALU_DEP_1) | instskip(NEXT) | instid1(VALU_DEP_1)
	v_fmac_f32_e32 v12, v13, v8
	v_fma_f32 v6, -v6, v12, v11
	s_delay_alu instid0(VALU_DEP_1) | instskip(NEXT) | instid1(VALU_DEP_1)
	v_div_fmas_f32 v6, v6, v8, v12
	v_div_fixup_f32 v5, v6, v7, v5
.LBB13_43:
	s_or_b32 exec_lo, exec_lo, s6
	v_cvt_f64_f32_e32 v[6:7], v9
	s_mov_b32 s7, 0x3fe55555
	s_mov_b32 s6, 0x55555555
	;; [unrolled: 1-line block ×3, first 2 shown]
	v_mov_b32_e32 v13, 0
	s_mov_b32 s8, 0x6b47b09a
	s_mov_b32 s10, 0xbf559e2b
	;; [unrolled: 1-line block ×4, first 2 shown]
	s_delay_alu instid0(VALU_DEP_2) | instskip(NEXT) | instid1(VALU_DEP_1)
	v_mul_f64 v[6:7], v[6:7], 0.5
	v_frexp_mant_f64_e32 v[11:12], v[6:7]
	v_frexp_exp_i32_f64_e32 v8, v[6:7]
	s_delay_alu instid0(VALU_DEP_2) | instskip(SKIP_2) | instid1(VALU_DEP_3)
	v_cmp_gt_f64_e32 vcc_lo, s[6:7], v[11:12]
	s_mov_b32 s6, 0x55555780
	v_cndmask_b32_e64 v14, 0x3ff00000, 2.0, vcc_lo
	v_subrev_co_ci_u32_e32 v8, vcc_lo, 0, v8, vcc_lo
	v_cmp_eq_f64_e32 vcc_lo, 0x7ff00000, v[6:7]
	s_delay_alu instid0(VALU_DEP_3) | instskip(NEXT) | instid1(VALU_DEP_1)
	v_mul_f64 v[11:12], v[11:12], v[13:14]
	v_add_f64 v[13:14], v[11:12], 1.0
	v_add_f64 v[19:20], v[11:12], -1.0
	s_delay_alu instid0(VALU_DEP_2) | instskip(SKIP_1) | instid1(VALU_DEP_1)
	v_rcp_f64_e32 v[15:16], v[13:14]
	v_add_f64 v[21:22], v[13:14], -1.0
	v_add_f64 v[11:12], v[11:12], -v[21:22]
	s_waitcnt_depctr 0xfff
	v_fma_f64 v[17:18], -v[13:14], v[15:16], 1.0
	s_delay_alu instid0(VALU_DEP_1) | instskip(NEXT) | instid1(VALU_DEP_1)
	v_fma_f64 v[15:16], v[17:18], v[15:16], v[15:16]
	v_fma_f64 v[17:18], -v[13:14], v[15:16], 1.0
	s_delay_alu instid0(VALU_DEP_1) | instskip(NEXT) | instid1(VALU_DEP_1)
	v_fma_f64 v[15:16], v[17:18], v[15:16], v[15:16]
	v_mul_f64 v[17:18], v[19:20], v[15:16]
	s_delay_alu instid0(VALU_DEP_1) | instskip(NEXT) | instid1(VALU_DEP_1)
	v_mul_f64 v[23:24], v[13:14], v[17:18]
	v_fma_f64 v[13:14], v[17:18], v[13:14], -v[23:24]
	s_delay_alu instid0(VALU_DEP_1) | instskip(NEXT) | instid1(VALU_DEP_1)
	v_fma_f64 v[11:12], v[17:18], v[11:12], v[13:14]
	v_add_f64 v[13:14], v[23:24], v[11:12]
	s_delay_alu instid0(VALU_DEP_1) | instskip(SKIP_1) | instid1(VALU_DEP_2)
	v_add_f64 v[21:22], v[19:20], -v[13:14]
	v_add_f64 v[23:24], v[13:14], -v[23:24]
	;; [unrolled: 1-line block ×3, first 2 shown]
	s_delay_alu instid0(VALU_DEP_2) | instskip(NEXT) | instid1(VALU_DEP_2)
	v_add_f64 v[11:12], v[23:24], -v[11:12]
	v_add_f64 v[13:14], v[19:20], -v[13:14]
	s_delay_alu instid0(VALU_DEP_1) | instskip(NEXT) | instid1(VALU_DEP_1)
	v_add_f64 v[11:12], v[11:12], v[13:14]
	v_add_f64 v[11:12], v[21:22], v[11:12]
	s_delay_alu instid0(VALU_DEP_1) | instskip(NEXT) | instid1(VALU_DEP_1)
	v_mul_f64 v[11:12], v[15:16], v[11:12]
	v_add_f64 v[13:14], v[17:18], v[11:12]
	s_delay_alu instid0(VALU_DEP_1) | instskip(NEXT) | instid1(VALU_DEP_1)
	v_mul_f64 v[15:16], v[13:14], v[13:14]
	v_fma_f64 v[19:20], v[15:16], s[10:11], s[8:9]
	s_mov_b32 s8, 0xd7f4df2e
	s_mov_b32 s9, 0x3fc7474d
	v_mul_f64 v[21:22], v[13:14], v[15:16]
	s_delay_alu instid0(VALU_DEP_2)
	v_fma_f64 v[19:20], v[15:16], v[19:20], s[8:9]
	s_mov_b32 s8, 0x16291751
	s_mov_b32 s9, 0x3fcc71c0
	s_delay_alu instid0(VALU_DEP_1) | instid1(SALU_CYCLE_1)
	v_fma_f64 v[19:20], v[15:16], v[19:20], s[8:9]
	s_mov_b32 s8, 0x9b27acf1
	s_mov_b32 s9, 0x3fd24924
	s_delay_alu instid0(VALU_DEP_1) | instid1(SALU_CYCLE_1)
	;; [unrolled: 4-line block ×3, first 2 shown]
	v_fma_f64 v[19:20], v[15:16], v[19:20], s[8:9]
	s_delay_alu instid0(VALU_DEP_1) | instskip(SKIP_4) | instid1(VALU_DEP_3)
	v_fma_f64 v[15:16], v[15:16], v[19:20], s[6:7]
	v_ldexp_f64 v[19:20], v[13:14], 1
	v_add_f64 v[13:14], v[13:14], -v[17:18]
	s_mov_b32 s6, 0xfefa39ef
	s_mov_b32 s7, 0x3fe62e42
	v_mul_f64 v[15:16], v[21:22], v[15:16]
	v_cvt_f64_i32_e32 v[21:22], v8
	s_delay_alu instid0(VALU_DEP_3) | instskip(NEXT) | instid1(VALU_DEP_3)
	v_add_f64 v[11:12], v[11:12], -v[13:14]
	v_add_f64 v[17:18], v[19:20], v[15:16]
	s_delay_alu instid0(VALU_DEP_3) | instskip(NEXT) | instid1(VALU_DEP_3)
	v_mul_f64 v[23:24], v[21:22], s[6:7]
	v_ldexp_f64 v[11:12], v[11:12], 1
	s_delay_alu instid0(VALU_DEP_3) | instskip(NEXT) | instid1(VALU_DEP_3)
	v_add_f64 v[13:14], v[17:18], -v[19:20]
	v_fma_f64 v[19:20], v[21:22], s[6:7], -v[23:24]
	s_mov_b32 s6, 0x3b39803f
	s_mov_b32 s7, 0x3c7abc9e
	s_delay_alu instid0(VALU_DEP_2) | instskip(NEXT) | instid1(VALU_DEP_2)
	v_add_f64 v[13:14], v[15:16], -v[13:14]
	v_fma_f64 v[15:16], v[21:22], s[6:7], v[19:20]
	s_delay_alu instid0(VALU_DEP_2) | instskip(NEXT) | instid1(VALU_DEP_2)
	v_add_f64 v[11:12], v[11:12], v[13:14]
	v_add_f64 v[13:14], v[23:24], v[15:16]
	s_delay_alu instid0(VALU_DEP_2) | instskip(NEXT) | instid1(VALU_DEP_2)
	v_add_f64 v[19:20], v[17:18], v[11:12]
	v_add_f64 v[23:24], v[13:14], -v[23:24]
	s_delay_alu instid0(VALU_DEP_2) | instskip(SKIP_1) | instid1(VALU_DEP_3)
	v_add_f64 v[21:22], v[13:14], v[19:20]
	v_add_f64 v[17:18], v[19:20], -v[17:18]
	v_add_f64 v[15:16], v[15:16], -v[23:24]
	s_delay_alu instid0(VALU_DEP_3) | instskip(NEXT) | instid1(VALU_DEP_3)
	v_add_f64 v[25:26], v[21:22], -v[13:14]
	v_add_f64 v[11:12], v[11:12], -v[17:18]
	s_delay_alu instid0(VALU_DEP_2) | instskip(SKIP_1) | instid1(VALU_DEP_3)
	v_add_f64 v[27:28], v[21:22], -v[25:26]
	v_add_f64 v[17:18], v[19:20], -v[25:26]
	v_add_f64 v[19:20], v[15:16], v[11:12]
	s_delay_alu instid0(VALU_DEP_3) | instskip(NEXT) | instid1(VALU_DEP_1)
	v_add_f64 v[13:14], v[13:14], -v[27:28]
	v_add_f64 v[13:14], v[17:18], v[13:14]
	s_delay_alu instid0(VALU_DEP_3) | instskip(NEXT) | instid1(VALU_DEP_2)
	v_add_f64 v[17:18], v[19:20], -v[15:16]
	v_add_f64 v[13:14], v[19:20], v[13:14]
	s_delay_alu instid0(VALU_DEP_2) | instskip(SKIP_1) | instid1(VALU_DEP_3)
	v_add_f64 v[19:20], v[19:20], -v[17:18]
	v_add_f64 v[11:12], v[11:12], -v[17:18]
	v_add_f64 v[23:24], v[21:22], v[13:14]
	s_delay_alu instid0(VALU_DEP_3) | instskip(NEXT) | instid1(VALU_DEP_2)
	v_add_f64 v[15:16], v[15:16], -v[19:20]
	v_add_f64 v[17:18], v[23:24], -v[21:22]
	s_delay_alu instid0(VALU_DEP_2) | instskip(SKIP_1) | instid1(VALU_DEP_1)
	v_add_f64 v[11:12], v[11:12], v[15:16]
	v_fma_f32 v15, v9, v9, -2.0
	v_fmaak_f32 v16, s0, v15, 0x293fd856
	s_delay_alu instid0(VALU_DEP_1) | instskip(SKIP_1) | instid1(VALU_DEP_2)
	v_fmaak_f32 v8, v15, v16, 0xa51e770f
	v_add_f64 v[13:14], v[13:14], -v[17:18]
	v_add_f32_e32 v17, 0x2d3612e2, v8
	s_delay_alu instid0(VALU_DEP_2) | instskip(NEXT) | instid1(VALU_DEP_2)
	v_add_f64 v[8:9], v[11:12], v[13:14]
	v_fma_f32 v11, v15, v17, -v16
	s_delay_alu instid0(VALU_DEP_1) | instskip(NEXT) | instid1(VALU_DEP_1)
	v_add_f32_e32 v11, 0x3102e09b, v11
	v_fma_f32 v12, v15, v11, -v17
	s_delay_alu instid0(VALU_DEP_1) | instskip(NEXT) | instid1(VALU_DEP_1)
	v_add_f32_e32 v12, 0x348815e7, v12
	v_fma_f32 v11, v15, v12, -v11
	s_delay_alu instid0(VALU_DEP_1) | instskip(NEXT) | instid1(VALU_DEP_1)
	v_add_f32_e32 v11, 0x37bfc808, v11
	v_fma_f32 v12, v15, v11, -v12
	v_add_f64 v[8:9], v[23:24], v[8:9]
	s_delay_alu instid0(VALU_DEP_1) | instskip(NEXT) | instid1(VALU_DEP_1)
	v_dual_add_f32 v12, 0x3aa5c174, v12 :: v_dual_cndmask_b32 v13, v8, v6
	v_fma_f32 v11, v15, v12, -v11
	s_delay_alu instid0(VALU_DEP_1) | instskip(NEXT) | instid1(VALU_DEP_1)
	v_add_f32_e32 v11, 0x3d135fb3, v11
	v_fma_f32 v12, v15, v11, -v12
	s_delay_alu instid0(VALU_DEP_1) | instskip(NEXT) | instid1(VALU_DEP_1)
	v_add_f32_e32 v12, 0x3eb046c4, v12
	;; [unrolled: 3-line block ×3, first 2 shown]
	v_sub_f32_e32 v11, v12, v11
	v_cndmask_b32_e32 v12, v9, v7, vcc_lo
	v_cmp_neq_f64_e32 vcc_lo, 0, v[6:7]
	v_cvt_f64_f32_e32 v[8:9], v5
	s_delay_alu instid0(VALU_DEP_4) | instskip(NEXT) | instid1(VALU_DEP_1)
	v_mul_f32_e32 v11, 0.5, v11
	v_cvt_f64_f32_e32 v[6:7], v11
	v_cndmask_b32_e32 v11, 0, v13, vcc_lo
	v_cndmask_b32_e32 v12, 0xfff00000, v12, vcc_lo
	s_delay_alu instid0(VALU_DEP_1) | instskip(NEXT) | instid1(VALU_DEP_1)
	v_fma_f64 v[5:6], -v[11:12], v[8:9], v[6:7]
	v_cvt_f32_f64_e32 v5, v[5:6]
                                        ; implicit-def: $vgpr6_vgpr7_vgpr8_vgpr9
.LBB13_44:
	s_and_not1_saveexec_b32 s5, s5
	s_cbranch_execz .LBB13_46
; %bb.45:
	v_div_scale_f32 v5, null, v9, v9, 0x41000000
	v_div_scale_f32 v8, vcc_lo, 0x41000000, v9, 0x41000000
	s_mov_b32 s0, 0x22c38d2e
	s_delay_alu instid0(VALU_DEP_2) | instskip(SKIP_2) | instid1(VALU_DEP_1)
	v_rcp_f32_e32 v6, v5
	s_waitcnt_depctr 0xfff
	v_fma_f32 v7, -v5, v6, 1.0
	v_fmac_f32_e32 v6, v7, v6
	s_delay_alu instid0(VALU_DEP_1) | instskip(NEXT) | instid1(VALU_DEP_1)
	v_mul_f32_e32 v7, v8, v6
	v_fma_f32 v11, -v5, v7, v8
	s_delay_alu instid0(VALU_DEP_1) | instskip(SKIP_1) | instid1(VALU_DEP_2)
	v_fmac_f32_e32 v7, v11, v6
	v_mul_f32_e32 v11, 0xbfb8aa3b, v9
	v_fma_f32 v5, -v5, v7, v8
	v_mul_f32_e32 v8, 0x4f800000, v9
	s_delay_alu instid0(VALU_DEP_3) | instskip(SKIP_1) | instid1(VALU_DEP_4)
	v_rndne_f32_e32 v12, v11
	v_fma_f32 v13, 0xbfb8aa3b, v9, -v11
	v_div_fmas_f32 v5, v5, v6, v7
	v_cmp_gt_f32_e32 vcc_lo, 0xf800000, v9
	s_delay_alu instid0(VALU_DEP_4) | instskip(NEXT) | instid1(VALU_DEP_4)
	v_sub_f32_e32 v11, v11, v12
	v_fmamk_f32 v13, v9, 0xb2a5705f, v13
	v_cvt_i32_f32_e32 v12, v12
	v_div_fixup_f32 v5, v5, v9, 0x41000000
	s_delay_alu instid0(VALU_DEP_3) | instskip(NEXT) | instid1(VALU_DEP_2)
	v_dual_cndmask_b32 v8, v9, v8 :: v_dual_add_f32 v11, v11, v13
	v_add_f32_e32 v5, -2.0, v5
	s_delay_alu instid0(VALU_DEP_2) | instskip(NEXT) | instid1(VALU_DEP_2)
	v_sqrt_f32_e32 v14, v8
	v_exp_f32_e32 v11, v11
	s_delay_alu instid0(VALU_DEP_1) | instskip(NEXT) | instid1(VALU_DEP_1)
	v_fmaak_f32 v6, s0, v5, 0xa397f665
	v_fmaak_f32 v7, v5, v6, 0xa2c38d2e
	s_waitcnt_depctr 0xfff
	v_add_nc_u32_e32 v13, -1, v14
	v_add_nc_u32_e32 v15, 1, v14
	v_add_f32_e32 v7, 0x24704972, v7
	s_delay_alu instid0(VALU_DEP_3) | instskip(NEXT) | instid1(VALU_DEP_3)
	v_fma_f32 v16, -v13, v14, v8
	v_fma_f32 v17, -v15, v14, v8
	s_delay_alu instid0(VALU_DEP_3) | instskip(NEXT) | instid1(VALU_DEP_3)
	v_fma_f32 v6, v5, v7, -v6
	v_cmp_ge_f32_e64 s0, 0, v16
	s_delay_alu instid0(VALU_DEP_2) | instskip(NEXT) | instid1(VALU_DEP_2)
	v_add_f32_e32 v6, 0xa5417ca4, v6
	v_cndmask_b32_e64 v13, v14, v13, s0
	v_cmp_lt_f32_e64 s0, 0, v17
	s_delay_alu instid0(VALU_DEP_3) | instskip(NEXT) | instid1(VALU_DEP_1)
	v_fma_f32 v7, v5, v6, -v7
	v_add_f32_e32 v7, 0x261edfcb, v7
	s_delay_alu instid0(VALU_DEP_1) | instskip(NEXT) | instid1(VALU_DEP_1)
	v_fma_f32 v6, v5, v7, -v6
	v_add_f32_e32 v6, 0xa7053487, v6
	s_delay_alu instid0(VALU_DEP_1) | instskip(NEXT) | instid1(VALU_DEP_1)
	v_fma_f32 v7, v5, v6, -v7
	v_add_f32_e32 v7, 0x27e46ce2, v7
	s_delay_alu instid0(VALU_DEP_1) | instskip(NEXT) | instid1(VALU_DEP_1)
	v_fma_f32 v6, v5, v7, -v6
	v_add_f32_e32 v6, 0xa8c8a2f6, v6
	s_delay_alu instid0(VALU_DEP_1) | instskip(NEXT) | instid1(VALU_DEP_1)
	v_fma_f32 v7, v5, v6, -v7
	v_add_f32_e32 v7, 0x29b4e276, v7
	s_delay_alu instid0(VALU_DEP_1) | instskip(NEXT) | instid1(VALU_DEP_1)
	v_fma_f32 v6, v5, v7, -v6
	v_add_f32_e32 v6, 0xaaa7c3b9, v6
	s_delay_alu instid0(VALU_DEP_1) | instskip(NEXT) | instid1(VALU_DEP_1)
	v_fma_f32 v7, v5, v6, -v7
	v_add_f32_e32 v7, 0x2ba07d19, v7
	s_delay_alu instid0(VALU_DEP_1) | instskip(NEXT) | instid1(VALU_DEP_1)
	v_fma_f32 v6, v5, v7, -v6
	v_add_f32_e32 v6, 0xac9ed7e2, v6
	s_delay_alu instid0(VALU_DEP_1) | instskip(NEXT) | instid1(VALU_DEP_1)
	v_fma_f32 v7, v5, v6, -v7
	v_add_f32_e32 v7, 0x2da34042, v7
	s_delay_alu instid0(VALU_DEP_1) | instskip(NEXT) | instid1(VALU_DEP_1)
	v_fma_f32 v6, v5, v7, -v6
	v_add_f32_e32 v6, 0xaeaefcaf, v6
	s_delay_alu instid0(VALU_DEP_1) | instskip(NEXT) | instid1(VALU_DEP_1)
	v_fma_f32 v7, v5, v6, -v7
	v_add_f32_e32 v7, 0x2fc4ab64, v7
	s_delay_alu instid0(VALU_DEP_1) | instskip(NEXT) | instid1(VALU_DEP_1)
	v_fma_f32 v6, v5, v7, -v6
	v_add_f32_e32 v6, 0xb0e94eb0, v6
	s_delay_alu instid0(VALU_DEP_1) | instskip(NEXT) | instid1(VALU_DEP_1)
	v_fma_f32 v7, v5, v6, -v7
	v_add_f32_e32 v7, 0x32134d00, v7
	s_delay_alu instid0(VALU_DEP_1) | instskip(NEXT) | instid1(VALU_DEP_1)
	v_fma_f32 v6, v5, v7, -v6
	v_add_f32_e32 v6, 0xb3482aa1, v6
	s_delay_alu instid0(VALU_DEP_1) | instskip(NEXT) | instid1(VALU_DEP_1)
	v_fma_f32 v7, v5, v6, -v7
	v_add_f32_e32 v7, 0x34948acc, v7
	s_delay_alu instid0(VALU_DEP_1) | instskip(NEXT) | instid1(VALU_DEP_1)
	v_fma_f32 v6, v5, v7, -v6
	v_add_f32_e32 v6, 0xb5f5daa4, v6
	s_delay_alu instid0(VALU_DEP_1) | instskip(NEXT) | instid1(VALU_DEP_1)
	v_fma_f32 v7, v5, v6, -v7
	v_add_f32_e32 v7, 0x376a09fe, v7
	s_delay_alu instid0(VALU_DEP_1) | instskip(NEXT) | instid1(VALU_DEP_1)
	v_fma_f32 v6, v5, v7, -v6
	v_add_f32_e32 v6, 0xb906bcbf, v6
	s_delay_alu instid0(VALU_DEP_1) | instskip(NEXT) | instid1(VALU_DEP_1)
	v_fma_f32 v7, v5, v6, -v7
	v_add_f32_e32 v7, 0x3acdc490, v7
	s_delay_alu instid0(VALU_DEP_1) | instskip(NEXT) | instid1(VALU_DEP_1)
	v_fma_f32 v6, v5, v7, -v6
	v_add_f32_e32 v6, 0xbd00cfb9, v6
	s_delay_alu instid0(VALU_DEP_1) | instskip(SKIP_3) | instid1(VALU_DEP_4)
	v_fma_f32 v5, v5, v6, -v7
	v_ldexp_f32 v6, v11, v12
	v_cndmask_b32_e64 v11, v13, v15, s0
	v_cmp_nlt_f32_e64 s0, 0x42ce8ed0, v9
	v_add_f32_e32 v5, 0x401c2ded, v5
	s_delay_alu instid0(VALU_DEP_3) | instskip(NEXT) | instid1(VALU_DEP_3)
	v_mul_f32_e32 v12, 0x37800000, v11
	v_cndmask_b32_e64 v6, 0, v6, s0
	v_cmp_ngt_f32_e64 s0, 0xc2b17218, v9
	s_delay_alu instid0(VALU_DEP_4) | instskip(NEXT) | instid1(VALU_DEP_4)
	v_sub_f32_e32 v5, v5, v7
	v_cndmask_b32_e32 v7, v11, v12, vcc_lo
	v_cmp_class_f32_e64 vcc_lo, v8, 0x260
	s_delay_alu instid0(VALU_DEP_4) | instskip(NEXT) | instid1(VALU_DEP_4)
	v_cndmask_b32_e64 v6, 0x7f800000, v6, s0
	v_mul_f32_e32 v5, 0.5, v5
	s_delay_alu instid0(VALU_DEP_4) | instskip(NEXT) | instid1(VALU_DEP_2)
	v_cndmask_b32_e32 v7, v7, v8, vcc_lo
	v_mul_f32_e32 v5, v6, v5
	s_delay_alu instid0(VALU_DEP_1) | instskip(NEXT) | instid1(VALU_DEP_1)
	v_div_scale_f32 v6, null, v7, v7, v5
	v_rcp_f32_e32 v8, v6
	s_waitcnt_depctr 0xfff
	v_fma_f32 v9, -v6, v8, 1.0
	s_delay_alu instid0(VALU_DEP_1) | instskip(SKIP_1) | instid1(VALU_DEP_1)
	v_fmac_f32_e32 v8, v9, v8
	v_div_scale_f32 v9, vcc_lo, v5, v7, v5
	v_mul_f32_e32 v11, v9, v8
	s_delay_alu instid0(VALU_DEP_1) | instskip(NEXT) | instid1(VALU_DEP_1)
	v_fma_f32 v12, -v6, v11, v9
	v_fmac_f32_e32 v11, v12, v8
	s_delay_alu instid0(VALU_DEP_1) | instskip(NEXT) | instid1(VALU_DEP_1)
	v_fma_f32 v6, -v6, v11, v9
	v_div_fmas_f32 v6, v6, v8, v11
	s_delay_alu instid0(VALU_DEP_1)
	v_div_fixup_f32 v5, v6, v7, v5
.LBB13_46:
	s_or_b32 exec_lo, exec_lo, s5
.LBB13_47:
	s_delay_alu instid0(SALU_CYCLE_1)
	s_or_b32 exec_lo, exec_lo, s4
.LBB13_48:
	s_delay_alu instid0(SALU_CYCLE_1) | instskip(SKIP_2) | instid1(VALU_DEP_2)
	s_or_b32 exec_lo, exec_lo, s1
	v_add_co_u32 v0, vcc_lo, v0, s2
	v_add_co_ci_u32_e32 v1, vcc_lo, s3, v1, vcc_lo
	v_add_co_u32 v0, vcc_lo, v0, v10
	s_delay_alu instid0(VALU_DEP_2)
	v_add_co_ci_u32_e32 v1, vcc_lo, 0, v1, vcc_lo
	flat_store_b128 v[0:1], v[2:5]
	s_waitcnt lgkmcnt(0)
	s_setpc_b64 s[30:31]
.Lfunc_end13:
	.size	_ZN2at6native25elementwise_kernel_helperILb0EZZZNS0_12_GLOBAL__N_130modified_bessel_k0_kernel_cudaERNS_18TensorIteratorBaseEENKUlvE_clEvENKUlvE0_clEvEUlfE_NS0_6memory8policies10vectorizedILi4ESt5arrayIPcLm2EELi4EEEEEvT0_T1_, .Lfunc_end13-_ZN2at6native25elementwise_kernel_helperILb0EZZZNS0_12_GLOBAL__N_130modified_bessel_k0_kernel_cudaERNS_18TensorIteratorBaseEENKUlvE_clEvENKUlvE0_clEvEUlfE_NS0_6memory8policies10vectorizedILi4ESt5arrayIPcLm2EELi4EEEEEvT0_T1_
                                        ; -- End function
	.section	.AMDGPU.csdata,"",@progbits
; Function info:
; codeLenInByte = 15344
; NumSgprs: 34
; NumVgprs: 32
; ScratchSize: 0
; MemoryBound: 0
	.section	.text._ZN2at6native29vectorized_elementwise_kernelILi16EZZZNS0_12_GLOBAL__N_130modified_bessel_k0_kernel_cudaERNS_18TensorIteratorBaseEENKUlvE_clEvENKUlvE0_clEvEUlfE_St5arrayIPcLm2EEEEviT0_T1_,"axG",@progbits,_ZN2at6native29vectorized_elementwise_kernelILi16EZZZNS0_12_GLOBAL__N_130modified_bessel_k0_kernel_cudaERNS_18TensorIteratorBaseEENKUlvE_clEvENKUlvE0_clEvEUlfE_St5arrayIPcLm2EEEEviT0_T1_,comdat
	.globl	_ZN2at6native29vectorized_elementwise_kernelILi16EZZZNS0_12_GLOBAL__N_130modified_bessel_k0_kernel_cudaERNS_18TensorIteratorBaseEENKUlvE_clEvENKUlvE0_clEvEUlfE_St5arrayIPcLm2EEEEviT0_T1_ ; -- Begin function _ZN2at6native29vectorized_elementwise_kernelILi16EZZZNS0_12_GLOBAL__N_130modified_bessel_k0_kernel_cudaERNS_18TensorIteratorBaseEENKUlvE_clEvENKUlvE0_clEvEUlfE_St5arrayIPcLm2EEEEviT0_T1_
	.p2align	8
	.type	_ZN2at6native29vectorized_elementwise_kernelILi16EZZZNS0_12_GLOBAL__N_130modified_bessel_k0_kernel_cudaERNS_18TensorIteratorBaseEENKUlvE_clEvENKUlvE0_clEvEUlfE_St5arrayIPcLm2EEEEviT0_T1_,@function
_ZN2at6native29vectorized_elementwise_kernelILi16EZZZNS0_12_GLOBAL__N_130modified_bessel_k0_kernel_cudaERNS_18TensorIteratorBaseEENKUlvE_clEvENKUlvE0_clEvEUlfE_St5arrayIPcLm2EEEEviT0_T1_: ; @_ZN2at6native29vectorized_elementwise_kernelILi16EZZZNS0_12_GLOBAL__N_130modified_bessel_k0_kernel_cudaERNS_18TensorIteratorBaseEENKUlvE_clEvENKUlvE0_clEvEUlfE_St5arrayIPcLm2EEEEviT0_T1_
; %bb.0:
	s_clause 0x1
	s_load_b32 s2, s[0:1], 0x0
	s_load_b128 s[16:19], s[0:1], 0x8
	s_lshl_b32 s0, s15, 10
	v_mov_b32_e32 v31, v0
	s_mov_b32 s12, s15
	s_mov_b32 s32, 0
	s_waitcnt lgkmcnt(0)
	s_sub_i32 s13, s2, s0
	s_mov_b32 s0, -1
	s_cmpk_gt_i32 s13, 0x3ff
	s_cbranch_scc1 .LBB14_3
; %bb.1:
	s_and_not1_b32 vcc_lo, exec_lo, s0
	s_cbranch_vccz .LBB14_4
.LBB14_2:
	s_endpgm
.LBB14_3:
	v_dual_mov_b32 v0, s16 :: v_dual_mov_b32 v1, s17
	v_dual_mov_b32 v2, s18 :: v_dual_mov_b32 v3, s19
	s_getpc_b64 s[0:1]
	s_add_u32 s0, s0, _ZN2at6native25elementwise_kernel_helperILb0EZZZNS0_12_GLOBAL__N_130modified_bessel_k0_kernel_cudaERNS_18TensorIteratorBaseEENKUlvE_clEvENKUlvE0_clEvEUlfE_NS0_6memory8policies10vectorizedILi4ESt5arrayIPcLm2EELi4EEEEEvT0_T1_@rel32@lo+4
	s_addc_u32 s1, s1, _ZN2at6native25elementwise_kernel_helperILb0EZZZNS0_12_GLOBAL__N_130modified_bessel_k0_kernel_cudaERNS_18TensorIteratorBaseEENKUlvE_clEvENKUlvE0_clEvEUlfE_NS0_6memory8policies10vectorizedILi4ESt5arrayIPcLm2EELi4EEEEEvT0_T1_@rel32@hi+12
	s_delay_alu instid0(SALU_CYCLE_1)
	s_swappc_b64 s[30:31], s[0:1]
	s_cbranch_execnz .LBB14_2
.LBB14_4:
	v_dual_mov_b32 v0, s16 :: v_dual_mov_b32 v1, s17
	v_dual_mov_b32 v2, s18 :: v_dual_mov_b32 v3, s19
	v_mov_b32_e32 v4, s13
	s_getpc_b64 s[0:1]
	s_add_u32 s0, s0, _ZN2at6native25elementwise_kernel_helperILb0EZZZNS0_12_GLOBAL__N_130modified_bessel_k0_kernel_cudaERNS_18TensorIteratorBaseEENKUlvE_clEvENKUlvE0_clEvEUlfE_NS0_6memory8policies11unroll_baseILi256ESt5arrayIPcLm2EE23TrivialOffsetCalculatorILi1EjESF_NS8_15LoadWithoutCastENS8_16StoreWithoutCastELi4ELi1EEEEEvT0_T1_@rel32@lo+4
	s_addc_u32 s1, s1, _ZN2at6native25elementwise_kernel_helperILb0EZZZNS0_12_GLOBAL__N_130modified_bessel_k0_kernel_cudaERNS_18TensorIteratorBaseEENKUlvE_clEvENKUlvE0_clEvEUlfE_NS0_6memory8policies11unroll_baseILi256ESt5arrayIPcLm2EE23TrivialOffsetCalculatorILi1EjESF_NS8_15LoadWithoutCastENS8_16StoreWithoutCastELi4ELi1EEEEEvT0_T1_@rel32@hi+12
	s_delay_alu instid0(SALU_CYCLE_1)
	s_swappc_b64 s[30:31], s[0:1]
	s_endpgm
	.section	.rodata,"a",@progbits
	.p2align	6, 0x0
	.amdhsa_kernel _ZN2at6native29vectorized_elementwise_kernelILi16EZZZNS0_12_GLOBAL__N_130modified_bessel_k0_kernel_cudaERNS_18TensorIteratorBaseEENKUlvE_clEvENKUlvE0_clEvEUlfE_St5arrayIPcLm2EEEEviT0_T1_
		.amdhsa_group_segment_fixed_size 0
		.amdhsa_private_segment_fixed_size 0
		.amdhsa_kernarg_size 24
		.amdhsa_user_sgpr_count 15
		.amdhsa_user_sgpr_dispatch_ptr 0
		.amdhsa_user_sgpr_queue_ptr 0
		.amdhsa_user_sgpr_kernarg_segment_ptr 1
		.amdhsa_user_sgpr_dispatch_id 0
		.amdhsa_user_sgpr_private_segment_size 0
		.amdhsa_wavefront_size32 1
		.amdhsa_uses_dynamic_stack 0
		.amdhsa_enable_private_segment 0
		.amdhsa_system_sgpr_workgroup_id_x 1
		.amdhsa_system_sgpr_workgroup_id_y 0
		.amdhsa_system_sgpr_workgroup_id_z 0
		.amdhsa_system_sgpr_workgroup_info 0
		.amdhsa_system_vgpr_workitem_id 0
		.amdhsa_next_free_vgpr 35
		.amdhsa_next_free_sgpr 33
		.amdhsa_reserve_vcc 1
		.amdhsa_float_round_mode_32 0
		.amdhsa_float_round_mode_16_64 0
		.amdhsa_float_denorm_mode_32 3
		.amdhsa_float_denorm_mode_16_64 3
		.amdhsa_dx10_clamp 1
		.amdhsa_ieee_mode 1
		.amdhsa_fp16_overflow 0
		.amdhsa_workgroup_processor_mode 1
		.amdhsa_memory_ordered 1
		.amdhsa_forward_progress 0
		.amdhsa_shared_vgpr_count 0
		.amdhsa_exception_fp_ieee_invalid_op 0
		.amdhsa_exception_fp_denorm_src 0
		.amdhsa_exception_fp_ieee_div_zero 0
		.amdhsa_exception_fp_ieee_overflow 0
		.amdhsa_exception_fp_ieee_underflow 0
		.amdhsa_exception_fp_ieee_inexact 0
		.amdhsa_exception_int_div_zero 0
	.end_amdhsa_kernel
	.section	.text._ZN2at6native29vectorized_elementwise_kernelILi16EZZZNS0_12_GLOBAL__N_130modified_bessel_k0_kernel_cudaERNS_18TensorIteratorBaseEENKUlvE_clEvENKUlvE0_clEvEUlfE_St5arrayIPcLm2EEEEviT0_T1_,"axG",@progbits,_ZN2at6native29vectorized_elementwise_kernelILi16EZZZNS0_12_GLOBAL__N_130modified_bessel_k0_kernel_cudaERNS_18TensorIteratorBaseEENKUlvE_clEvENKUlvE0_clEvEUlfE_St5arrayIPcLm2EEEEviT0_T1_,comdat
.Lfunc_end14:
	.size	_ZN2at6native29vectorized_elementwise_kernelILi16EZZZNS0_12_GLOBAL__N_130modified_bessel_k0_kernel_cudaERNS_18TensorIteratorBaseEENKUlvE_clEvENKUlvE0_clEvEUlfE_St5arrayIPcLm2EEEEviT0_T1_, .Lfunc_end14-_ZN2at6native29vectorized_elementwise_kernelILi16EZZZNS0_12_GLOBAL__N_130modified_bessel_k0_kernel_cudaERNS_18TensorIteratorBaseEENKUlvE_clEvENKUlvE0_clEvEUlfE_St5arrayIPcLm2EEEEviT0_T1_
                                        ; -- End function
	.section	.AMDGPU.csdata,"",@progbits
; Kernel info:
; codeLenInByte = 168
; NumSgprs: 35
; NumVgprs: 35
; ScratchSize: 0
; MemoryBound: 0
; FloatMode: 240
; IeeeMode: 1
; LDSByteSize: 0 bytes/workgroup (compile time only)
; SGPRBlocks: 4
; VGPRBlocks: 4
; NumSGPRsForWavesPerEU: 35
; NumVGPRsForWavesPerEU: 35
; Occupancy: 16
; WaveLimiterHint : 0
; COMPUTE_PGM_RSRC2:SCRATCH_EN: 0
; COMPUTE_PGM_RSRC2:USER_SGPR: 15
; COMPUTE_PGM_RSRC2:TRAP_HANDLER: 0
; COMPUTE_PGM_RSRC2:TGID_X_EN: 1
; COMPUTE_PGM_RSRC2:TGID_Y_EN: 0
; COMPUTE_PGM_RSRC2:TGID_Z_EN: 0
; COMPUTE_PGM_RSRC2:TIDIG_COMP_CNT: 0
	.section	.text._ZN2at6native29vectorized_elementwise_kernelILi8EZZZNS0_12_GLOBAL__N_130modified_bessel_k0_kernel_cudaERNS_18TensorIteratorBaseEENKUlvE_clEvENKUlvE0_clEvEUlfE_St5arrayIPcLm2EEEEviT0_T1_,"axG",@progbits,_ZN2at6native29vectorized_elementwise_kernelILi8EZZZNS0_12_GLOBAL__N_130modified_bessel_k0_kernel_cudaERNS_18TensorIteratorBaseEENKUlvE_clEvENKUlvE0_clEvEUlfE_St5arrayIPcLm2EEEEviT0_T1_,comdat
	.globl	_ZN2at6native29vectorized_elementwise_kernelILi8EZZZNS0_12_GLOBAL__N_130modified_bessel_k0_kernel_cudaERNS_18TensorIteratorBaseEENKUlvE_clEvENKUlvE0_clEvEUlfE_St5arrayIPcLm2EEEEviT0_T1_ ; -- Begin function _ZN2at6native29vectorized_elementwise_kernelILi8EZZZNS0_12_GLOBAL__N_130modified_bessel_k0_kernel_cudaERNS_18TensorIteratorBaseEENKUlvE_clEvENKUlvE0_clEvEUlfE_St5arrayIPcLm2EEEEviT0_T1_
	.p2align	8
	.type	_ZN2at6native29vectorized_elementwise_kernelILi8EZZZNS0_12_GLOBAL__N_130modified_bessel_k0_kernel_cudaERNS_18TensorIteratorBaseEENKUlvE_clEvENKUlvE0_clEvEUlfE_St5arrayIPcLm2EEEEviT0_T1_,@function
_ZN2at6native29vectorized_elementwise_kernelILi8EZZZNS0_12_GLOBAL__N_130modified_bessel_k0_kernel_cudaERNS_18TensorIteratorBaseEENKUlvE_clEvENKUlvE0_clEvEUlfE_St5arrayIPcLm2EEEEviT0_T1_: ; @_ZN2at6native29vectorized_elementwise_kernelILi8EZZZNS0_12_GLOBAL__N_130modified_bessel_k0_kernel_cudaERNS_18TensorIteratorBaseEENKUlvE_clEvENKUlvE0_clEvEUlfE_St5arrayIPcLm2EEEEviT0_T1_
; %bb.0:
	s_clause 0x1
	s_load_b32 s2, s[0:1], 0x0
	s_load_b128 s[16:19], s[0:1], 0x8
	s_lshl_b32 s0, s15, 10
	v_mov_b32_e32 v31, v0
	s_mov_b32 s12, s15
	s_mov_b32 s32, 0
	s_waitcnt lgkmcnt(0)
	s_sub_i32 s13, s2, s0
	s_mov_b32 s0, -1
	s_cmpk_gt_i32 s13, 0x3ff
	s_cbranch_scc1 .LBB15_3
; %bb.1:
	s_and_not1_b32 vcc_lo, exec_lo, s0
	s_cbranch_vccz .LBB15_4
.LBB15_2:
	s_endpgm
.LBB15_3:
	v_dual_mov_b32 v0, s16 :: v_dual_mov_b32 v1, s17
	v_dual_mov_b32 v2, s18 :: v_dual_mov_b32 v3, s19
	s_getpc_b64 s[0:1]
	s_add_u32 s0, s0, _ZN2at6native25elementwise_kernel_helperILb0EZZZNS0_12_GLOBAL__N_130modified_bessel_k0_kernel_cudaERNS_18TensorIteratorBaseEENKUlvE_clEvENKUlvE0_clEvEUlfE_NS0_6memory8policies10vectorizedILi4ESt5arrayIPcLm2EELi4EEEEEvT0_T1_@rel32@lo+4
	s_addc_u32 s1, s1, _ZN2at6native25elementwise_kernel_helperILb0EZZZNS0_12_GLOBAL__N_130modified_bessel_k0_kernel_cudaERNS_18TensorIteratorBaseEENKUlvE_clEvENKUlvE0_clEvEUlfE_NS0_6memory8policies10vectorizedILi4ESt5arrayIPcLm2EELi4EEEEEvT0_T1_@rel32@hi+12
	s_delay_alu instid0(SALU_CYCLE_1)
	s_swappc_b64 s[30:31], s[0:1]
	s_cbranch_execnz .LBB15_2
.LBB15_4:
	v_dual_mov_b32 v0, s16 :: v_dual_mov_b32 v1, s17
	v_dual_mov_b32 v2, s18 :: v_dual_mov_b32 v3, s19
	v_mov_b32_e32 v4, s13
	s_getpc_b64 s[0:1]
	s_add_u32 s0, s0, _ZN2at6native25elementwise_kernel_helperILb0EZZZNS0_12_GLOBAL__N_130modified_bessel_k0_kernel_cudaERNS_18TensorIteratorBaseEENKUlvE_clEvENKUlvE0_clEvEUlfE_NS0_6memory8policies11unroll_baseILi256ESt5arrayIPcLm2EE23TrivialOffsetCalculatorILi1EjESF_NS8_15LoadWithoutCastENS8_16StoreWithoutCastELi4ELi1EEEEEvT0_T1_@rel32@lo+4
	s_addc_u32 s1, s1, _ZN2at6native25elementwise_kernel_helperILb0EZZZNS0_12_GLOBAL__N_130modified_bessel_k0_kernel_cudaERNS_18TensorIteratorBaseEENKUlvE_clEvENKUlvE0_clEvEUlfE_NS0_6memory8policies11unroll_baseILi256ESt5arrayIPcLm2EE23TrivialOffsetCalculatorILi1EjESF_NS8_15LoadWithoutCastENS8_16StoreWithoutCastELi4ELi1EEEEEvT0_T1_@rel32@hi+12
	s_delay_alu instid0(SALU_CYCLE_1)
	s_swappc_b64 s[30:31], s[0:1]
	s_endpgm
	.section	.rodata,"a",@progbits
	.p2align	6, 0x0
	.amdhsa_kernel _ZN2at6native29vectorized_elementwise_kernelILi8EZZZNS0_12_GLOBAL__N_130modified_bessel_k0_kernel_cudaERNS_18TensorIteratorBaseEENKUlvE_clEvENKUlvE0_clEvEUlfE_St5arrayIPcLm2EEEEviT0_T1_
		.amdhsa_group_segment_fixed_size 0
		.amdhsa_private_segment_fixed_size 0
		.amdhsa_kernarg_size 24
		.amdhsa_user_sgpr_count 15
		.amdhsa_user_sgpr_dispatch_ptr 0
		.amdhsa_user_sgpr_queue_ptr 0
		.amdhsa_user_sgpr_kernarg_segment_ptr 1
		.amdhsa_user_sgpr_dispatch_id 0
		.amdhsa_user_sgpr_private_segment_size 0
		.amdhsa_wavefront_size32 1
		.amdhsa_uses_dynamic_stack 0
		.amdhsa_enable_private_segment 0
		.amdhsa_system_sgpr_workgroup_id_x 1
		.amdhsa_system_sgpr_workgroup_id_y 0
		.amdhsa_system_sgpr_workgroup_id_z 0
		.amdhsa_system_sgpr_workgroup_info 0
		.amdhsa_system_vgpr_workitem_id 0
		.amdhsa_next_free_vgpr 35
		.amdhsa_next_free_sgpr 33
		.amdhsa_reserve_vcc 1
		.amdhsa_float_round_mode_32 0
		.amdhsa_float_round_mode_16_64 0
		.amdhsa_float_denorm_mode_32 3
		.amdhsa_float_denorm_mode_16_64 3
		.amdhsa_dx10_clamp 1
		.amdhsa_ieee_mode 1
		.amdhsa_fp16_overflow 0
		.amdhsa_workgroup_processor_mode 1
		.amdhsa_memory_ordered 1
		.amdhsa_forward_progress 0
		.amdhsa_shared_vgpr_count 0
		.amdhsa_exception_fp_ieee_invalid_op 0
		.amdhsa_exception_fp_denorm_src 0
		.amdhsa_exception_fp_ieee_div_zero 0
		.amdhsa_exception_fp_ieee_overflow 0
		.amdhsa_exception_fp_ieee_underflow 0
		.amdhsa_exception_fp_ieee_inexact 0
		.amdhsa_exception_int_div_zero 0
	.end_amdhsa_kernel
	.section	.text._ZN2at6native29vectorized_elementwise_kernelILi8EZZZNS0_12_GLOBAL__N_130modified_bessel_k0_kernel_cudaERNS_18TensorIteratorBaseEENKUlvE_clEvENKUlvE0_clEvEUlfE_St5arrayIPcLm2EEEEviT0_T1_,"axG",@progbits,_ZN2at6native29vectorized_elementwise_kernelILi8EZZZNS0_12_GLOBAL__N_130modified_bessel_k0_kernel_cudaERNS_18TensorIteratorBaseEENKUlvE_clEvENKUlvE0_clEvEUlfE_St5arrayIPcLm2EEEEviT0_T1_,comdat
.Lfunc_end15:
	.size	_ZN2at6native29vectorized_elementwise_kernelILi8EZZZNS0_12_GLOBAL__N_130modified_bessel_k0_kernel_cudaERNS_18TensorIteratorBaseEENKUlvE_clEvENKUlvE0_clEvEUlfE_St5arrayIPcLm2EEEEviT0_T1_, .Lfunc_end15-_ZN2at6native29vectorized_elementwise_kernelILi8EZZZNS0_12_GLOBAL__N_130modified_bessel_k0_kernel_cudaERNS_18TensorIteratorBaseEENKUlvE_clEvENKUlvE0_clEvEUlfE_St5arrayIPcLm2EEEEviT0_T1_
                                        ; -- End function
	.section	.AMDGPU.csdata,"",@progbits
; Kernel info:
; codeLenInByte = 168
; NumSgprs: 35
; NumVgprs: 35
; ScratchSize: 0
; MemoryBound: 0
; FloatMode: 240
; IeeeMode: 1
; LDSByteSize: 0 bytes/workgroup (compile time only)
; SGPRBlocks: 4
; VGPRBlocks: 4
; NumSGPRsForWavesPerEU: 35
; NumVGPRsForWavesPerEU: 35
; Occupancy: 16
; WaveLimiterHint : 0
; COMPUTE_PGM_RSRC2:SCRATCH_EN: 0
; COMPUTE_PGM_RSRC2:USER_SGPR: 15
; COMPUTE_PGM_RSRC2:TRAP_HANDLER: 0
; COMPUTE_PGM_RSRC2:TGID_X_EN: 1
; COMPUTE_PGM_RSRC2:TGID_Y_EN: 0
; COMPUTE_PGM_RSRC2:TGID_Z_EN: 0
; COMPUTE_PGM_RSRC2:TIDIG_COMP_CNT: 0
	.section	.text._ZN2at6native29vectorized_elementwise_kernelILi4EZZZNS0_12_GLOBAL__N_130modified_bessel_k0_kernel_cudaERNS_18TensorIteratorBaseEENKUlvE_clEvENKUlvE0_clEvEUlfE_St5arrayIPcLm2EEEEviT0_T1_,"axG",@progbits,_ZN2at6native29vectorized_elementwise_kernelILi4EZZZNS0_12_GLOBAL__N_130modified_bessel_k0_kernel_cudaERNS_18TensorIteratorBaseEENKUlvE_clEvENKUlvE0_clEvEUlfE_St5arrayIPcLm2EEEEviT0_T1_,comdat
	.globl	_ZN2at6native29vectorized_elementwise_kernelILi4EZZZNS0_12_GLOBAL__N_130modified_bessel_k0_kernel_cudaERNS_18TensorIteratorBaseEENKUlvE_clEvENKUlvE0_clEvEUlfE_St5arrayIPcLm2EEEEviT0_T1_ ; -- Begin function _ZN2at6native29vectorized_elementwise_kernelILi4EZZZNS0_12_GLOBAL__N_130modified_bessel_k0_kernel_cudaERNS_18TensorIteratorBaseEENKUlvE_clEvENKUlvE0_clEvEUlfE_St5arrayIPcLm2EEEEviT0_T1_
	.p2align	8
	.type	_ZN2at6native29vectorized_elementwise_kernelILi4EZZZNS0_12_GLOBAL__N_130modified_bessel_k0_kernel_cudaERNS_18TensorIteratorBaseEENKUlvE_clEvENKUlvE0_clEvEUlfE_St5arrayIPcLm2EEEEviT0_T1_,@function
_ZN2at6native29vectorized_elementwise_kernelILi4EZZZNS0_12_GLOBAL__N_130modified_bessel_k0_kernel_cudaERNS_18TensorIteratorBaseEENKUlvE_clEvENKUlvE0_clEvEUlfE_St5arrayIPcLm2EEEEviT0_T1_: ; @_ZN2at6native29vectorized_elementwise_kernelILi4EZZZNS0_12_GLOBAL__N_130modified_bessel_k0_kernel_cudaERNS_18TensorIteratorBaseEENKUlvE_clEvENKUlvE0_clEvEUlfE_St5arrayIPcLm2EEEEviT0_T1_
; %bb.0:
	s_clause 0x1
	s_load_b32 s2, s[0:1], 0x0
	s_load_b128 s[16:19], s[0:1], 0x8
	s_lshl_b32 s0, s15, 10
	v_mov_b32_e32 v31, v0
	s_mov_b32 s12, s15
	s_mov_b32 s32, 0
	s_waitcnt lgkmcnt(0)
	s_sub_i32 s13, s2, s0
	s_mov_b32 s0, -1
	s_cmpk_gt_i32 s13, 0x3ff
	s_cbranch_scc1 .LBB16_3
; %bb.1:
	s_and_not1_b32 vcc_lo, exec_lo, s0
	s_cbranch_vccz .LBB16_4
.LBB16_2:
	s_endpgm
.LBB16_3:
	v_dual_mov_b32 v0, s16 :: v_dual_mov_b32 v1, s17
	v_dual_mov_b32 v2, s18 :: v_dual_mov_b32 v3, s19
	s_getpc_b64 s[0:1]
	s_add_u32 s0, s0, _ZN2at6native25elementwise_kernel_helperILb0EZZZNS0_12_GLOBAL__N_130modified_bessel_k0_kernel_cudaERNS_18TensorIteratorBaseEENKUlvE_clEvENKUlvE0_clEvEUlfE_NS0_6memory8policies10vectorizedILi4ESt5arrayIPcLm2EELi4EEEEEvT0_T1_@rel32@lo+4
	s_addc_u32 s1, s1, _ZN2at6native25elementwise_kernel_helperILb0EZZZNS0_12_GLOBAL__N_130modified_bessel_k0_kernel_cudaERNS_18TensorIteratorBaseEENKUlvE_clEvENKUlvE0_clEvEUlfE_NS0_6memory8policies10vectorizedILi4ESt5arrayIPcLm2EELi4EEEEEvT0_T1_@rel32@hi+12
	s_delay_alu instid0(SALU_CYCLE_1)
	s_swappc_b64 s[30:31], s[0:1]
	s_cbranch_execnz .LBB16_2
.LBB16_4:
	v_dual_mov_b32 v0, s16 :: v_dual_mov_b32 v1, s17
	v_dual_mov_b32 v2, s18 :: v_dual_mov_b32 v3, s19
	v_mov_b32_e32 v4, s13
	s_getpc_b64 s[0:1]
	s_add_u32 s0, s0, _ZN2at6native25elementwise_kernel_helperILb0EZZZNS0_12_GLOBAL__N_130modified_bessel_k0_kernel_cudaERNS_18TensorIteratorBaseEENKUlvE_clEvENKUlvE0_clEvEUlfE_NS0_6memory8policies11unroll_baseILi256ESt5arrayIPcLm2EE23TrivialOffsetCalculatorILi1EjESF_NS8_15LoadWithoutCastENS8_16StoreWithoutCastELi4ELi1EEEEEvT0_T1_@rel32@lo+4
	s_addc_u32 s1, s1, _ZN2at6native25elementwise_kernel_helperILb0EZZZNS0_12_GLOBAL__N_130modified_bessel_k0_kernel_cudaERNS_18TensorIteratorBaseEENKUlvE_clEvENKUlvE0_clEvEUlfE_NS0_6memory8policies11unroll_baseILi256ESt5arrayIPcLm2EE23TrivialOffsetCalculatorILi1EjESF_NS8_15LoadWithoutCastENS8_16StoreWithoutCastELi4ELi1EEEEEvT0_T1_@rel32@hi+12
	s_delay_alu instid0(SALU_CYCLE_1)
	s_swappc_b64 s[30:31], s[0:1]
	s_endpgm
	.section	.rodata,"a",@progbits
	.p2align	6, 0x0
	.amdhsa_kernel _ZN2at6native29vectorized_elementwise_kernelILi4EZZZNS0_12_GLOBAL__N_130modified_bessel_k0_kernel_cudaERNS_18TensorIteratorBaseEENKUlvE_clEvENKUlvE0_clEvEUlfE_St5arrayIPcLm2EEEEviT0_T1_
		.amdhsa_group_segment_fixed_size 0
		.amdhsa_private_segment_fixed_size 0
		.amdhsa_kernarg_size 24
		.amdhsa_user_sgpr_count 15
		.amdhsa_user_sgpr_dispatch_ptr 0
		.amdhsa_user_sgpr_queue_ptr 0
		.amdhsa_user_sgpr_kernarg_segment_ptr 1
		.amdhsa_user_sgpr_dispatch_id 0
		.amdhsa_user_sgpr_private_segment_size 0
		.amdhsa_wavefront_size32 1
		.amdhsa_uses_dynamic_stack 0
		.amdhsa_enable_private_segment 0
		.amdhsa_system_sgpr_workgroup_id_x 1
		.amdhsa_system_sgpr_workgroup_id_y 0
		.amdhsa_system_sgpr_workgroup_id_z 0
		.amdhsa_system_sgpr_workgroup_info 0
		.amdhsa_system_vgpr_workitem_id 0
		.amdhsa_next_free_vgpr 35
		.amdhsa_next_free_sgpr 33
		.amdhsa_reserve_vcc 1
		.amdhsa_float_round_mode_32 0
		.amdhsa_float_round_mode_16_64 0
		.amdhsa_float_denorm_mode_32 3
		.amdhsa_float_denorm_mode_16_64 3
		.amdhsa_dx10_clamp 1
		.amdhsa_ieee_mode 1
		.amdhsa_fp16_overflow 0
		.amdhsa_workgroup_processor_mode 1
		.amdhsa_memory_ordered 1
		.amdhsa_forward_progress 0
		.amdhsa_shared_vgpr_count 0
		.amdhsa_exception_fp_ieee_invalid_op 0
		.amdhsa_exception_fp_denorm_src 0
		.amdhsa_exception_fp_ieee_div_zero 0
		.amdhsa_exception_fp_ieee_overflow 0
		.amdhsa_exception_fp_ieee_underflow 0
		.amdhsa_exception_fp_ieee_inexact 0
		.amdhsa_exception_int_div_zero 0
	.end_amdhsa_kernel
	.section	.text._ZN2at6native29vectorized_elementwise_kernelILi4EZZZNS0_12_GLOBAL__N_130modified_bessel_k0_kernel_cudaERNS_18TensorIteratorBaseEENKUlvE_clEvENKUlvE0_clEvEUlfE_St5arrayIPcLm2EEEEviT0_T1_,"axG",@progbits,_ZN2at6native29vectorized_elementwise_kernelILi4EZZZNS0_12_GLOBAL__N_130modified_bessel_k0_kernel_cudaERNS_18TensorIteratorBaseEENKUlvE_clEvENKUlvE0_clEvEUlfE_St5arrayIPcLm2EEEEviT0_T1_,comdat
.Lfunc_end16:
	.size	_ZN2at6native29vectorized_elementwise_kernelILi4EZZZNS0_12_GLOBAL__N_130modified_bessel_k0_kernel_cudaERNS_18TensorIteratorBaseEENKUlvE_clEvENKUlvE0_clEvEUlfE_St5arrayIPcLm2EEEEviT0_T1_, .Lfunc_end16-_ZN2at6native29vectorized_elementwise_kernelILi4EZZZNS0_12_GLOBAL__N_130modified_bessel_k0_kernel_cudaERNS_18TensorIteratorBaseEENKUlvE_clEvENKUlvE0_clEvEUlfE_St5arrayIPcLm2EEEEviT0_T1_
                                        ; -- End function
	.section	.AMDGPU.csdata,"",@progbits
; Kernel info:
; codeLenInByte = 168
; NumSgprs: 35
; NumVgprs: 35
; ScratchSize: 0
; MemoryBound: 0
; FloatMode: 240
; IeeeMode: 1
; LDSByteSize: 0 bytes/workgroup (compile time only)
; SGPRBlocks: 4
; VGPRBlocks: 4
; NumSGPRsForWavesPerEU: 35
; NumVGPRsForWavesPerEU: 35
; Occupancy: 16
; WaveLimiterHint : 0
; COMPUTE_PGM_RSRC2:SCRATCH_EN: 0
; COMPUTE_PGM_RSRC2:USER_SGPR: 15
; COMPUTE_PGM_RSRC2:TRAP_HANDLER: 0
; COMPUTE_PGM_RSRC2:TGID_X_EN: 1
; COMPUTE_PGM_RSRC2:TGID_Y_EN: 0
; COMPUTE_PGM_RSRC2:TGID_Z_EN: 0
; COMPUTE_PGM_RSRC2:TIDIG_COMP_CNT: 0
	.section	.text._ZN2at6native29vectorized_elementwise_kernelILi2EZZZNS0_12_GLOBAL__N_130modified_bessel_k0_kernel_cudaERNS_18TensorIteratorBaseEENKUlvE_clEvENKUlvE0_clEvEUlfE_St5arrayIPcLm2EEEEviT0_T1_,"axG",@progbits,_ZN2at6native29vectorized_elementwise_kernelILi2EZZZNS0_12_GLOBAL__N_130modified_bessel_k0_kernel_cudaERNS_18TensorIteratorBaseEENKUlvE_clEvENKUlvE0_clEvEUlfE_St5arrayIPcLm2EEEEviT0_T1_,comdat
	.globl	_ZN2at6native29vectorized_elementwise_kernelILi2EZZZNS0_12_GLOBAL__N_130modified_bessel_k0_kernel_cudaERNS_18TensorIteratorBaseEENKUlvE_clEvENKUlvE0_clEvEUlfE_St5arrayIPcLm2EEEEviT0_T1_ ; -- Begin function _ZN2at6native29vectorized_elementwise_kernelILi2EZZZNS0_12_GLOBAL__N_130modified_bessel_k0_kernel_cudaERNS_18TensorIteratorBaseEENKUlvE_clEvENKUlvE0_clEvEUlfE_St5arrayIPcLm2EEEEviT0_T1_
	.p2align	8
	.type	_ZN2at6native29vectorized_elementwise_kernelILi2EZZZNS0_12_GLOBAL__N_130modified_bessel_k0_kernel_cudaERNS_18TensorIteratorBaseEENKUlvE_clEvENKUlvE0_clEvEUlfE_St5arrayIPcLm2EEEEviT0_T1_,@function
_ZN2at6native29vectorized_elementwise_kernelILi2EZZZNS0_12_GLOBAL__N_130modified_bessel_k0_kernel_cudaERNS_18TensorIteratorBaseEENKUlvE_clEvENKUlvE0_clEvEUlfE_St5arrayIPcLm2EEEEviT0_T1_: ; @_ZN2at6native29vectorized_elementwise_kernelILi2EZZZNS0_12_GLOBAL__N_130modified_bessel_k0_kernel_cudaERNS_18TensorIteratorBaseEENKUlvE_clEvENKUlvE0_clEvEUlfE_St5arrayIPcLm2EEEEviT0_T1_
; %bb.0:
	s_clause 0x1
	s_load_b32 s2, s[0:1], 0x0
	s_load_b128 s[4:7], s[0:1], 0x8
	s_lshl_b32 s0, s15, 10
	s_mov_b32 s1, -1
	s_mov_b32 s32, 0
	s_waitcnt lgkmcnt(0)
	s_sub_i32 s8, s2, s0
	s_delay_alu instid0(SALU_CYCLE_1)
	s_cmpk_gt_i32 s8, 0x3ff
	s_cbranch_scc1 .LBB17_3
; %bb.1:
	s_and_b32 vcc_lo, exec_lo, s1
	s_cbranch_vccnz .LBB17_52
.LBB17_2:
	s_nop 0
	s_sendmsg sendmsg(MSG_DEALLOC_VGPRS)
	s_endpgm
.LBB17_3:
	s_ashr_i32 s1, s0, 31
	v_dual_mov_b32 v2, 0x7f800000 :: v_dual_lshlrev_b32 v7, 3, v0
	s_lshl_b64 s[2:3], s[0:1], 2
	v_mov_b32_e32 v1, 0x7f800000
	s_add_u32 s0, s6, s2
	s_addc_u32 s1, s7, s3
	s_clause 0x1
	global_load_b64 v[5:6], v7, s[0:1]
	global_load_b64 v[3:4], v7, s[0:1] offset:2048
	s_mov_b32 s1, exec_lo
	s_waitcnt vmcnt(1)
	v_cmpx_neq_f32_e32 0, v5
	s_cbranch_execz .LBB17_15
; %bb.4:
	v_mov_b32_e32 v1, 0x7fc00000
	s_mov_b32 s9, exec_lo
	v_cmpx_ngt_f32_e32 0, v5
	s_cbranch_execz .LBB17_14
; %bb.5:
	s_mov_b32 s0, exec_lo
	v_cmpx_ge_f32_e32 2.0, v5
	s_xor_b32 s10, exec_lo, s0
	s_cbranch_execz .LBB17_11
; %bb.6:
	v_mul_f32_e32 v8, 0x3fb8aa3b, v5
	s_mov_b32 s0, exec_lo
                                        ; implicit-def: $vgpr1
	v_cmpx_ge_f32_e32 0x41000000, v5
	s_xor_b32 s0, exec_lo, s0
	s_cbranch_execz .LBB17_8
; %bb.7:
	v_fma_f32 v1, v5, 0.5, -2.0
	s_mov_b32 s11, 0xa2a2e5b9
	v_rndne_f32_e32 v11, v8
	v_fma_f32 v12, 0x3fb8aa3b, v5, -v8
	v_cmp_ngt_f32_e32 vcc_lo, 0xc2ce8ed0, v5
	s_delay_alu instid0(VALU_DEP_3) | instskip(NEXT) | instid1(VALU_DEP_3)
	v_dual_fmaak_f32 v9, s11, v1, 0x24199b15 :: v_dual_sub_f32 v8, v8, v11
	v_fmamk_f32 v12, v5, 0x32a5705f, v12
	v_cvt_i32_f32_e32 v11, v11
	s_delay_alu instid0(VALU_DEP_3) | instskip(NEXT) | instid1(VALU_DEP_3)
	v_fmaak_f32 v10, v1, v9, 0x22a2e5b9
	v_add_f32_e32 v8, v8, v12
	s_delay_alu instid0(VALU_DEP_2) | instskip(NEXT) | instid1(VALU_DEP_2)
	v_add_f32_e32 v10, 0xa58c275c, v10
	v_exp_f32_e32 v8, v8
	s_delay_alu instid0(VALU_DEP_1) | instskip(NEXT) | instid1(VALU_DEP_1)
	v_fma_f32 v9, v1, v10, -v9
	v_add_f32_e32 v9, 0x26f736c5, v9
	s_waitcnt_depctr 0xfff
	v_ldexp_f32 v8, v8, v11
	v_fma_f32 v10, v1, v9, -v10
	s_delay_alu instid0(VALU_DEP_2) | instskip(SKIP_1) | instid1(VALU_DEP_3)
	v_cndmask_b32_e32 v8, 0, v8, vcc_lo
	v_cmp_nlt_f32_e32 vcc_lo, 0x42b17218, v5
	v_add_f32_e32 v10, 0xa8528116, v10
	s_delay_alu instid0(VALU_DEP_3) | instskip(NEXT) | instid1(VALU_DEP_2)
	v_cndmask_b32_e32 v8, 0x7f800000, v8, vcc_lo
	v_fma_f32 v9, v1, v10, -v9
	s_delay_alu instid0(VALU_DEP_1) | instskip(NEXT) | instid1(VALU_DEP_1)
	v_add_f32_e32 v9, 0x29acda32, v9
	v_fma_f32 v10, v1, v9, -v10
	s_delay_alu instid0(VALU_DEP_1) | instskip(NEXT) | instid1(VALU_DEP_1)
	v_add_f32_e32 v10, 0xab08b263, v10
	;; [unrolled: 3-line block ×25, first 2 shown]
	v_sub_f32_e32 v1, v1, v9
	s_delay_alu instid0(VALU_DEP_1) | instskip(NEXT) | instid1(VALU_DEP_1)
	v_mul_f32_e32 v1, 0.5, v1
	v_mul_f32_e32 v1, v8, v1
                                        ; implicit-def: $vgpr8
.LBB17_8:
	s_and_not1_saveexec_b32 s11, s0
	s_cbranch_execz .LBB17_10
; %bb.9:
	v_div_scale_f32 v1, null, v5, v5, 0x42000000
	v_div_scale_f32 v11, vcc_lo, 0x42000000, v5, 0x42000000
	v_fma_f32 v13, 0x3fb8aa3b, v5, -v8
	s_delay_alu instid0(VALU_DEP_3) | instskip(SKIP_1) | instid1(VALU_DEP_1)
	v_rcp_f32_e32 v9, v1
	s_mov_b32 s0, 0xa3056dbb
	v_fmamk_f32 v13, v5, 0x32a5705f, v13
	s_waitcnt_depctr 0xfff
	v_fma_f32 v10, -v1, v9, 1.0
	s_delay_alu instid0(VALU_DEP_1) | instskip(NEXT) | instid1(VALU_DEP_1)
	v_fmac_f32_e32 v9, v10, v9
	v_mul_f32_e32 v10, v11, v9
	s_delay_alu instid0(VALU_DEP_1) | instskip(NEXT) | instid1(VALU_DEP_1)
	v_fma_f32 v12, -v1, v10, v11
	v_fmac_f32_e32 v10, v12, v9
	v_rndne_f32_e32 v12, v8
	s_delay_alu instid0(VALU_DEP_2) | instskip(NEXT) | instid1(VALU_DEP_2)
	v_fma_f32 v1, -v1, v10, v11
	v_dual_mul_f32 v11, 0x4f800000, v5 :: v_dual_sub_f32 v8, v8, v12
	v_cvt_i32_f32_e32 v12, v12
	s_delay_alu instid0(VALU_DEP_3) | instskip(SKIP_1) | instid1(VALU_DEP_2)
	v_div_fmas_f32 v1, v1, v9, v10
	v_cmp_gt_f32_e32 vcc_lo, 0xf800000, v5
	v_div_fixup_f32 v1, v1, v5, 0x42000000
	v_cndmask_b32_e32 v11, v5, v11, vcc_lo
	s_delay_alu instid0(VALU_DEP_2) | instskip(NEXT) | instid1(VALU_DEP_2)
	v_add_f32_e32 v1, -2.0, v1
	v_sqrt_f32_e32 v14, v11
	v_add_f32_e32 v8, v8, v13
	s_delay_alu instid0(VALU_DEP_2) | instskip(SKIP_4) | instid1(VALU_DEP_2)
	v_fmaak_f32 v9, s0, v1, 0xa2b236d3
	s_waitcnt_depctr 0xfff
	v_dual_fmaak_f32 v10, v1, v9, 0x23056dbb :: v_dual_add_nc_u32 v13, -1, v14
	v_add_nc_u32_e32 v15, 1, v14
	v_exp_f32_e32 v8, v8
	v_add_f32_e32 v10, 0x244df0c1, v10
	s_delay_alu instid0(VALU_DEP_3) | instskip(NEXT) | instid1(VALU_DEP_3)
	v_fma_f32 v16, -v13, v14, v11
	v_fma_f32 v17, -v15, v14, v11
	s_delay_alu instid0(VALU_DEP_3) | instskip(NEXT) | instid1(VALU_DEP_3)
	v_fma_f32 v9, v1, v10, -v9
	v_cmp_ge_f32_e64 s0, 0, v16
	s_waitcnt_depctr 0xfff
	v_ldexp_f32 v8, v8, v12
	v_add_f32_e32 v9, 0x241f9ee8, v9
	v_cndmask_b32_e64 v13, v14, v13, s0
	v_cmp_lt_f32_e64 s0, 0, v17
	s_delay_alu instid0(VALU_DEP_3) | instskip(NEXT) | instid1(VALU_DEP_1)
	v_fma_f32 v10, v1, v9, -v10
	v_add_f32_e32 v10, 0xa5a3005d, v10
	s_delay_alu instid0(VALU_DEP_1) | instskip(NEXT) | instid1(VALU_DEP_1)
	v_fma_f32 v9, v1, v10, -v9
	v_add_f32_e32 v9, 0xa5c5773f, v9
	s_delay_alu instid0(VALU_DEP_1) | instskip(NEXT) | instid1(VALU_DEP_1)
	;; [unrolled: 3-line block ×19, first 2 shown]
	v_fma_f32 v9, v1, v10, -v9
	v_add_f32_e32 v9, 0x3b5ccc65, v9
	s_delay_alu instid0(VALU_DEP_1) | instskip(SKIP_2) | instid1(VALU_DEP_3)
	v_fma_f32 v1, v1, v9, -v10
	v_cndmask_b32_e64 v9, v13, v15, s0
	v_cmp_ngt_f32_e64 s0, 0xc2ce8ed0, v5
	v_add_f32_e32 v1, 0x3f4df315, v1
	s_delay_alu instid0(VALU_DEP_3) | instskip(NEXT) | instid1(VALU_DEP_3)
	v_mul_f32_e32 v12, 0x37800000, v9
	v_cndmask_b32_e64 v8, 0, v8, s0
	v_cmp_nlt_f32_e64 s0, 0x42b17218, v5
	s_delay_alu instid0(VALU_DEP_4) | instskip(NEXT) | instid1(VALU_DEP_4)
	v_sub_f32_e32 v1, v1, v10
	v_cndmask_b32_e32 v9, v9, v12, vcc_lo
	v_cmp_class_f32_e64 vcc_lo, v11, 0x260
	s_delay_alu instid0(VALU_DEP_4) | instskip(NEXT) | instid1(VALU_DEP_4)
	v_cndmask_b32_e64 v8, 0x7f800000, v8, s0
	v_mul_f32_e32 v1, 0.5, v1
	s_delay_alu instid0(VALU_DEP_4) | instskip(NEXT) | instid1(VALU_DEP_2)
	v_cndmask_b32_e32 v9, v9, v11, vcc_lo
	v_mul_f32_e32 v1, v8, v1
	s_delay_alu instid0(VALU_DEP_1) | instskip(NEXT) | instid1(VALU_DEP_1)
	v_div_scale_f32 v8, null, v9, v9, v1
	v_rcp_f32_e32 v10, v8
	s_waitcnt_depctr 0xfff
	v_fma_f32 v11, -v8, v10, 1.0
	s_delay_alu instid0(VALU_DEP_1) | instskip(SKIP_1) | instid1(VALU_DEP_1)
	v_fmac_f32_e32 v10, v11, v10
	v_div_scale_f32 v11, vcc_lo, v1, v9, v1
	v_mul_f32_e32 v12, v11, v10
	s_delay_alu instid0(VALU_DEP_1) | instskip(NEXT) | instid1(VALU_DEP_1)
	v_fma_f32 v13, -v8, v12, v11
	v_fmac_f32_e32 v12, v13, v10
	s_delay_alu instid0(VALU_DEP_1) | instskip(NEXT) | instid1(VALU_DEP_1)
	v_fma_f32 v8, -v8, v12, v11
	v_div_fmas_f32 v8, v8, v10, v12
	s_delay_alu instid0(VALU_DEP_1)
	v_div_fixup_f32 v1, v8, v9, v1
.LBB17_10:
	s_or_b32 exec_lo, exec_lo, s11
	v_cvt_f64_f32_e32 v[8:9], v5
	s_mov_b32 s13, 0x3fe55555
	s_mov_b32 s12, 0x55555555
	;; [unrolled: 1-line block ×3, first 2 shown]
	v_mov_b32_e32 v12, 0
	s_mov_b32 s16, 0x6b47b09a
	s_mov_b32 s18, 0xbf559e2b
	;; [unrolled: 1-line block ×4, first 2 shown]
	s_delay_alu instid0(VALU_DEP_2) | instskip(NEXT) | instid1(VALU_DEP_1)
	v_mul_f64 v[8:9], v[8:9], 0.5
	v_frexp_mant_f64_e32 v[10:11], v[8:9]
	s_delay_alu instid0(VALU_DEP_1) | instskip(SKIP_2) | instid1(VALU_DEP_1)
	v_cmp_gt_f64_e32 vcc_lo, s[12:13], v[10:11]
	s_mov_b32 s12, 0x55555780
	v_cndmask_b32_e64 v13, 0x3ff00000, 2.0, vcc_lo
	v_mul_f64 v[10:11], v[10:11], v[12:13]
	s_delay_alu instid0(VALU_DEP_1) | instskip(SKIP_1) | instid1(VALU_DEP_2)
	v_add_f64 v[12:13], v[10:11], 1.0
	v_add_f64 v[18:19], v[10:11], -1.0
	v_rcp_f64_e32 v[14:15], v[12:13]
	v_add_f64 v[20:21], v[12:13], -1.0
	s_delay_alu instid0(VALU_DEP_1) | instskip(SKIP_2) | instid1(VALU_DEP_1)
	v_add_f64 v[10:11], v[10:11], -v[20:21]
	s_waitcnt_depctr 0xfff
	v_fma_f64 v[16:17], -v[12:13], v[14:15], 1.0
	v_fma_f64 v[14:15], v[16:17], v[14:15], v[14:15]
	s_delay_alu instid0(VALU_DEP_1) | instskip(NEXT) | instid1(VALU_DEP_1)
	v_fma_f64 v[16:17], -v[12:13], v[14:15], 1.0
	v_fma_f64 v[14:15], v[16:17], v[14:15], v[14:15]
	s_delay_alu instid0(VALU_DEP_1) | instskip(NEXT) | instid1(VALU_DEP_1)
	v_mul_f64 v[16:17], v[18:19], v[14:15]
	v_mul_f64 v[22:23], v[12:13], v[16:17]
	s_delay_alu instid0(VALU_DEP_1) | instskip(NEXT) | instid1(VALU_DEP_1)
	v_fma_f64 v[12:13], v[16:17], v[12:13], -v[22:23]
	v_fma_f64 v[10:11], v[16:17], v[10:11], v[12:13]
	s_delay_alu instid0(VALU_DEP_1) | instskip(NEXT) | instid1(VALU_DEP_1)
	v_add_f64 v[12:13], v[22:23], v[10:11]
	v_add_f64 v[20:21], v[18:19], -v[12:13]
	v_add_f64 v[22:23], v[12:13], -v[22:23]
	s_delay_alu instid0(VALU_DEP_2) | instskip(NEXT) | instid1(VALU_DEP_2)
	v_add_f64 v[18:19], v[18:19], -v[20:21]
	v_add_f64 v[10:11], v[22:23], -v[10:11]
	v_frexp_exp_i32_f64_e32 v22, v[8:9]
	s_delay_alu instid0(VALU_DEP_3) | instskip(NEXT) | instid1(VALU_DEP_1)
	v_add_f64 v[12:13], v[18:19], -v[12:13]
	v_add_f64 v[10:11], v[10:11], v[12:13]
	s_delay_alu instid0(VALU_DEP_1) | instskip(NEXT) | instid1(VALU_DEP_1)
	v_add_f64 v[10:11], v[20:21], v[10:11]
	v_mul_f64 v[10:11], v[14:15], v[10:11]
	s_delay_alu instid0(VALU_DEP_1) | instskip(NEXT) | instid1(VALU_DEP_1)
	v_add_f64 v[12:13], v[16:17], v[10:11]
	v_mul_f64 v[14:15], v[12:13], v[12:13]
	s_delay_alu instid0(VALU_DEP_1) | instskip(SKIP_3) | instid1(VALU_DEP_2)
	v_fma_f64 v[18:19], v[14:15], s[18:19], s[16:17]
	s_mov_b32 s16, 0xd7f4df2e
	s_mov_b32 s17, 0x3fc7474d
	v_mul_f64 v[20:21], v[12:13], v[14:15]
	v_fma_f64 v[18:19], v[14:15], v[18:19], s[16:17]
	s_mov_b32 s16, 0x16291751
	s_mov_b32 s17, 0x3fcc71c0
	s_delay_alu instid0(VALU_DEP_1) | instid1(SALU_CYCLE_1)
	v_fma_f64 v[18:19], v[14:15], v[18:19], s[16:17]
	s_mov_b32 s16, 0x9b27acf1
	s_mov_b32 s17, 0x3fd24924
	s_delay_alu instid0(VALU_DEP_1) | instid1(SALU_CYCLE_1)
	;; [unrolled: 4-line block ×3, first 2 shown]
	v_fma_f64 v[18:19], v[14:15], v[18:19], s[16:17]
	s_delay_alu instid0(VALU_DEP_1) | instskip(SKIP_4) | instid1(VALU_DEP_3)
	v_fma_f64 v[14:15], v[14:15], v[18:19], s[12:13]
	v_ldexp_f64 v[18:19], v[12:13], 1
	v_add_f64 v[12:13], v[12:13], -v[16:17]
	s_mov_b32 s12, 0xfefa39ef
	s_mov_b32 s13, 0x3fe62e42
	v_mul_f64 v[14:15], v[20:21], v[14:15]
	v_subrev_co_ci_u32_e32 v20, vcc_lo, 0, v22, vcc_lo
	s_delay_alu instid0(VALU_DEP_3) | instskip(SKIP_1) | instid1(VALU_DEP_3)
	v_add_f64 v[10:11], v[10:11], -v[12:13]
	v_cmp_eq_f64_e32 vcc_lo, 0x7ff00000, v[8:9]
	v_cvt_f64_i32_e32 v[20:21], v20
	v_add_f64 v[16:17], v[18:19], v[14:15]
	s_delay_alu instid0(VALU_DEP_4) | instskip(NEXT) | instid1(VALU_DEP_3)
	v_ldexp_f64 v[10:11], v[10:11], 1
	v_mul_f64 v[22:23], v[20:21], s[12:13]
	s_delay_alu instid0(VALU_DEP_3) | instskip(NEXT) | instid1(VALU_DEP_2)
	v_add_f64 v[12:13], v[16:17], -v[18:19]
	v_fma_f64 v[18:19], v[20:21], s[12:13], -v[22:23]
	s_mov_b32 s12, 0x3b39803f
	s_mov_b32 s13, 0x3c7abc9e
	s_delay_alu instid0(VALU_DEP_2) | instskip(NEXT) | instid1(VALU_DEP_2)
	v_add_f64 v[12:13], v[14:15], -v[12:13]
	v_fma_f64 v[14:15], v[20:21], s[12:13], v[18:19]
	s_delay_alu instid0(VALU_DEP_2) | instskip(NEXT) | instid1(VALU_DEP_2)
	v_add_f64 v[10:11], v[10:11], v[12:13]
	v_add_f64 v[12:13], v[22:23], v[14:15]
	s_delay_alu instid0(VALU_DEP_2) | instskip(NEXT) | instid1(VALU_DEP_2)
	v_add_f64 v[18:19], v[16:17], v[10:11]
	v_add_f64 v[22:23], v[12:13], -v[22:23]
	s_delay_alu instid0(VALU_DEP_2) | instskip(SKIP_1) | instid1(VALU_DEP_3)
	v_add_f64 v[20:21], v[12:13], v[18:19]
	v_add_f64 v[16:17], v[18:19], -v[16:17]
	v_add_f64 v[14:15], v[14:15], -v[22:23]
	s_delay_alu instid0(VALU_DEP_3) | instskip(NEXT) | instid1(VALU_DEP_3)
	v_add_f64 v[24:25], v[20:21], -v[12:13]
	v_add_f64 v[10:11], v[10:11], -v[16:17]
	s_delay_alu instid0(VALU_DEP_2) | instskip(SKIP_1) | instid1(VALU_DEP_3)
	v_add_f64 v[26:27], v[20:21], -v[24:25]
	v_add_f64 v[16:17], v[18:19], -v[24:25]
	v_add_f64 v[18:19], v[14:15], v[10:11]
	s_delay_alu instid0(VALU_DEP_3) | instskip(NEXT) | instid1(VALU_DEP_1)
	v_add_f64 v[12:13], v[12:13], -v[26:27]
	v_add_f64 v[12:13], v[16:17], v[12:13]
	s_delay_alu instid0(VALU_DEP_3) | instskip(NEXT) | instid1(VALU_DEP_2)
	v_add_f64 v[16:17], v[18:19], -v[14:15]
	v_add_f64 v[12:13], v[18:19], v[12:13]
	s_delay_alu instid0(VALU_DEP_2) | instskip(SKIP_1) | instid1(VALU_DEP_3)
	v_add_f64 v[18:19], v[18:19], -v[16:17]
	v_add_f64 v[10:11], v[10:11], -v[16:17]
	v_add_f64 v[22:23], v[20:21], v[12:13]
	s_delay_alu instid0(VALU_DEP_3) | instskip(NEXT) | instid1(VALU_DEP_2)
	v_add_f64 v[14:15], v[14:15], -v[18:19]
	v_add_f64 v[16:17], v[22:23], -v[20:21]
	s_delay_alu instid0(VALU_DEP_2) | instskip(SKIP_1) | instid1(VALU_DEP_1)
	v_add_f64 v[10:11], v[10:11], v[14:15]
	v_fma_f32 v14, v5, v5, -2.0
	v_fmaak_f32 v15, s0, v14, 0x293fd856
	s_delay_alu instid0(VALU_DEP_4) | instskip(NEXT) | instid1(VALU_DEP_1)
	v_add_f64 v[12:13], v[12:13], -v[16:17]
	v_add_f64 v[10:11], v[10:11], v[12:13]
	s_delay_alu instid0(VALU_DEP_1) | instskip(NEXT) | instid1(VALU_DEP_4)
	v_add_f64 v[10:11], v[22:23], v[10:11]
	v_fmaak_f32 v16, v14, v15, 0xa51e770f
	s_delay_alu instid0(VALU_DEP_1) | instskip(NEXT) | instid1(VALU_DEP_1)
	v_add_f32_e32 v16, 0x2d3612e2, v16
	v_fma_f32 v12, v14, v16, -v15
	s_delay_alu instid0(VALU_DEP_1) | instskip(NEXT) | instid1(VALU_DEP_1)
	v_add_f32_e32 v12, 0x3102e09b, v12
	v_fma_f32 v13, v14, v12, -v16
	;; [unrolled: 3-line block ×7, first 2 shown]
	s_delay_alu instid0(VALU_DEP_1) | instskip(NEXT) | instid1(VALU_DEP_1)
	v_dual_cndmask_b32 v14, v10, v8 :: v_dual_add_f32 v13, 0xbf090b37, v13
	v_dual_sub_f32 v12, v13, v12 :: v_dual_cndmask_b32 v13, v11, v9
	v_cmp_neq_f64_e32 vcc_lo, 0, v[8:9]
	v_cvt_f64_f32_e32 v[10:11], v1
	s_delay_alu instid0(VALU_DEP_3) | instskip(NEXT) | instid1(VALU_DEP_1)
	v_dual_cndmask_b32 v13, 0xfff00000, v13 :: v_dual_mul_f32 v12, 0.5, v12
	v_cvt_f64_f32_e32 v[8:9], v12
	v_cndmask_b32_e32 v12, 0, v14, vcc_lo
	s_delay_alu instid0(VALU_DEP_1) | instskip(NEXT) | instid1(VALU_DEP_1)
	v_fma_f64 v[8:9], -v[12:13], v[10:11], v[8:9]
	v_cvt_f32_f64_e32 v1, v[8:9]
.LBB17_11:
	s_and_not1_saveexec_b32 s10, s10
	s_cbranch_execz .LBB17_13
; %bb.12:
	v_div_scale_f32 v1, null, v5, v5, 0x41000000
	v_div_scale_f32 v10, vcc_lo, 0x41000000, v5, 0x41000000
	s_mov_b32 s0, 0x22c38d2e
	s_delay_alu instid0(VALU_DEP_2) | instskip(SKIP_2) | instid1(VALU_DEP_1)
	v_rcp_f32_e32 v8, v1
	s_waitcnt_depctr 0xfff
	v_fma_f32 v9, -v1, v8, 1.0
	v_fmac_f32_e32 v8, v9, v8
	s_delay_alu instid0(VALU_DEP_1) | instskip(NEXT) | instid1(VALU_DEP_1)
	v_mul_f32_e32 v9, v10, v8
	v_fma_f32 v11, -v1, v9, v10
	s_delay_alu instid0(VALU_DEP_1) | instskip(NEXT) | instid1(VALU_DEP_1)
	v_fmac_f32_e32 v9, v11, v8
	v_fma_f32 v1, -v1, v9, v10
	v_mul_f32_e32 v10, 0x4f800000, v5
	s_delay_alu instid0(VALU_DEP_2) | instskip(SKIP_2) | instid1(VALU_DEP_3)
	v_div_fmas_f32 v1, v1, v8, v9
	v_cmp_gt_f32_e32 vcc_lo, 0xf800000, v5
	v_mul_f32_e32 v11, 0xbfb8aa3b, v5
	v_div_fixup_f32 v1, v1, v5, 0x41000000
	v_cndmask_b32_e32 v10, v5, v10, vcc_lo
	s_delay_alu instid0(VALU_DEP_3) | instskip(SKIP_1) | instid1(VALU_DEP_4)
	v_rndne_f32_e32 v12, v11
	v_fma_f32 v13, 0xbfb8aa3b, v5, -v11
	v_add_f32_e32 v1, -2.0, v1
	s_delay_alu instid0(VALU_DEP_4) | instskip(NEXT) | instid1(VALU_DEP_3)
	v_sqrt_f32_e32 v14, v10
	v_sub_f32_e32 v11, v11, v12
	s_delay_alu instid0(VALU_DEP_3) | instskip(SKIP_2) | instid1(VALU_DEP_3)
	v_fmamk_f32 v13, v5, 0xb2a5705f, v13
	v_cvt_i32_f32_e32 v12, v12
	v_fmaak_f32 v8, s0, v1, 0xa397f665
	v_add_f32_e32 v11, v11, v13
	s_delay_alu instid0(VALU_DEP_2) | instskip(NEXT) | instid1(TRANS32_DEP_1)
	v_fmaak_f32 v9, v1, v8, 0xa2c38d2e
	v_add_nc_u32_e32 v13, -1, v14
	v_add_nc_u32_e32 v15, 1, v14
	s_delay_alu instid0(VALU_DEP_4) | instskip(NEXT) | instid1(VALU_DEP_3)
	v_exp_f32_e32 v11, v11
	v_add_f32_e32 v9, 0x24704972, v9
	s_delay_alu instid0(VALU_DEP_3) | instskip(NEXT) | instid1(VALU_DEP_3)
	v_fma_f32 v16, -v13, v14, v10
	v_fma_f32 v17, -v15, v14, v10
	s_delay_alu instid0(VALU_DEP_3) | instskip(NEXT) | instid1(VALU_DEP_3)
	v_fma_f32 v8, v1, v9, -v8
	v_cmp_ge_f32_e64 s0, 0, v16
	s_delay_alu instid0(VALU_DEP_2) | instskip(NEXT) | instid1(VALU_DEP_2)
	v_add_f32_e32 v8, 0xa5417ca4, v8
	v_cndmask_b32_e64 v13, v14, v13, s0
	v_cmp_lt_f32_e64 s0, 0, v17
	s_delay_alu instid0(VALU_DEP_3) | instskip(NEXT) | instid1(VALU_DEP_1)
	v_fma_f32 v9, v1, v8, -v9
	v_add_f32_e32 v9, 0x261edfcb, v9
	s_delay_alu instid0(VALU_DEP_1) | instskip(NEXT) | instid1(VALU_DEP_1)
	v_fma_f32 v8, v1, v9, -v8
	v_add_f32_e32 v8, 0xa7053487, v8
	s_delay_alu instid0(VALU_DEP_1) | instskip(NEXT) | instid1(VALU_DEP_1)
	;; [unrolled: 3-line block ×19, first 2 shown]
	v_fma_f32 v8, v1, v9, -v8
	v_add_f32_e32 v8, 0xbd00cfb9, v8
	s_delay_alu instid0(VALU_DEP_1) | instskip(SKIP_3) | instid1(VALU_DEP_4)
	v_fma_f32 v1, v1, v8, -v9
	v_ldexp_f32 v8, v11, v12
	v_cndmask_b32_e64 v11, v13, v15, s0
	v_cmp_nlt_f32_e64 s0, 0x42ce8ed0, v5
	v_add_f32_e32 v1, 0x401c2ded, v1
	s_delay_alu instid0(VALU_DEP_3) | instskip(NEXT) | instid1(VALU_DEP_3)
	v_mul_f32_e32 v12, 0x37800000, v11
	v_cndmask_b32_e64 v8, 0, v8, s0
	v_cmp_ngt_f32_e64 s0, 0xc2b17218, v5
	s_delay_alu instid0(VALU_DEP_4) | instskip(NEXT) | instid1(VALU_DEP_2)
	v_sub_f32_e32 v1, v1, v9
	v_cndmask_b32_e64 v5, 0x7f800000, v8, s0
	s_delay_alu instid0(VALU_DEP_2) | instskip(SKIP_1) | instid1(VALU_DEP_2)
	v_dual_cndmask_b32 v8, v11, v12 :: v_dual_mul_f32 v1, 0.5, v1
	v_cmp_class_f32_e64 vcc_lo, v10, 0x260
	v_dual_mul_f32 v1, v5, v1 :: v_dual_cndmask_b32 v8, v8, v10
	s_delay_alu instid0(VALU_DEP_1) | instskip(NEXT) | instid1(VALU_DEP_1)
	v_div_scale_f32 v5, null, v8, v8, v1
	v_rcp_f32_e32 v9, v5
	s_waitcnt_depctr 0xfff
	v_fma_f32 v10, -v5, v9, 1.0
	s_delay_alu instid0(VALU_DEP_1) | instskip(SKIP_1) | instid1(VALU_DEP_1)
	v_fmac_f32_e32 v9, v10, v9
	v_div_scale_f32 v10, vcc_lo, v1, v8, v1
	v_mul_f32_e32 v11, v10, v9
	s_delay_alu instid0(VALU_DEP_1) | instskip(NEXT) | instid1(VALU_DEP_1)
	v_fma_f32 v12, -v5, v11, v10
	v_fmac_f32_e32 v11, v12, v9
	s_delay_alu instid0(VALU_DEP_1) | instskip(NEXT) | instid1(VALU_DEP_1)
	v_fma_f32 v5, -v5, v11, v10
	v_div_fmas_f32 v5, v5, v9, v11
	s_delay_alu instid0(VALU_DEP_1)
	v_div_fixup_f32 v1, v5, v8, v1
.LBB17_13:
	s_or_b32 exec_lo, exec_lo, s10
.LBB17_14:
	s_delay_alu instid0(SALU_CYCLE_1)
	s_or_b32 exec_lo, exec_lo, s9
.LBB17_15:
	s_delay_alu instid0(SALU_CYCLE_1) | instskip(NEXT) | instid1(SALU_CYCLE_1)
	s_or_b32 exec_lo, exec_lo, s1
	s_mov_b32 s1, exec_lo
	v_cmpx_neq_f32_e32 0, v6
	s_cbranch_execz .LBB17_27
; %bb.16:
	v_mov_b32_e32 v2, 0x7fc00000
	s_mov_b32 s9, exec_lo
	v_cmpx_ngt_f32_e32 0, v6
	s_cbranch_execz .LBB17_26
; %bb.17:
	s_mov_b32 s0, exec_lo
	v_cmpx_ge_f32_e32 2.0, v6
	s_xor_b32 s10, exec_lo, s0
	s_cbranch_execz .LBB17_23
; %bb.18:
	v_mul_f32_e32 v5, 0x3fb8aa3b, v6
	s_mov_b32 s0, exec_lo
                                        ; implicit-def: $vgpr2
	v_cmpx_ge_f32_e32 0x41000000, v6
	s_xor_b32 s0, exec_lo, s0
	s_cbranch_execz .LBB17_20
; %bb.19:
	v_fma_f32 v2, v6, 0.5, -2.0
	v_rndne_f32_e32 v10, v5
	v_fma_f32 v11, 0x3fb8aa3b, v6, -v5
	s_mov_b32 s11, 0xa2a2e5b9
	v_cmp_ngt_f32_e32 vcc_lo, 0xc2ce8ed0, v6
	s_delay_alu instid0(VALU_DEP_3) | instskip(NEXT) | instid1(VALU_DEP_3)
	v_sub_f32_e32 v5, v5, v10
	v_fmamk_f32 v11, v6, 0x32a5705f, v11
	v_fmaak_f32 v8, s11, v2, 0x24199b15
	v_cvt_i32_f32_e32 v10, v10
	s_delay_alu instid0(VALU_DEP_3) | instskip(NEXT) | instid1(VALU_DEP_3)
	v_add_f32_e32 v5, v5, v11
	v_fmaak_f32 v9, v2, v8, 0x22a2e5b9
	s_delay_alu instid0(VALU_DEP_2) | instskip(NEXT) | instid1(VALU_DEP_1)
	v_exp_f32_e32 v5, v5
	v_add_f32_e32 v9, 0xa58c275c, v9
	s_delay_alu instid0(VALU_DEP_1) | instskip(SKIP_2) | instid1(VALU_DEP_1)
	v_fma_f32 v8, v2, v9, -v8
	s_waitcnt_depctr 0xfff
	v_ldexp_f32 v5, v5, v10
	v_dual_add_f32 v8, 0x26f736c5, v8 :: v_dual_cndmask_b32 v5, 0, v5
	s_delay_alu instid0(VALU_DEP_1) | instskip(SKIP_1) | instid1(VALU_DEP_3)
	v_fma_f32 v9, v2, v8, -v9
	v_cmp_nlt_f32_e32 vcc_lo, 0x42b17218, v6
	v_cndmask_b32_e32 v5, 0x7f800000, v5, vcc_lo
	s_delay_alu instid0(VALU_DEP_3) | instskip(NEXT) | instid1(VALU_DEP_1)
	v_add_f32_e32 v9, 0xa8528116, v9
	v_fma_f32 v8, v2, v9, -v8
	s_delay_alu instid0(VALU_DEP_1) | instskip(NEXT) | instid1(VALU_DEP_1)
	v_add_f32_e32 v8, 0x29acda32, v8
	v_fma_f32 v9, v2, v8, -v9
	s_delay_alu instid0(VALU_DEP_1) | instskip(NEXT) | instid1(VALU_DEP_1)
	;; [unrolled: 3-line block ×25, first 2 shown]
	v_add_f32_e32 v2, 0x3f2d4275, v2
	v_sub_f32_e32 v2, v2, v8
	s_delay_alu instid0(VALU_DEP_1) | instskip(NEXT) | instid1(VALU_DEP_1)
	v_mul_f32_e32 v2, 0.5, v2
	v_mul_f32_e32 v2, v5, v2
                                        ; implicit-def: $vgpr5
.LBB17_20:
	s_and_not1_saveexec_b32 s11, s0
	s_cbranch_execz .LBB17_22
; %bb.21:
	v_div_scale_f32 v2, null, v6, v6, 0x42000000
	v_div_scale_f32 v10, vcc_lo, 0x42000000, v6, 0x42000000
	s_mov_b32 s0, 0xa3056dbb
	s_delay_alu instid0(VALU_DEP_2) | instskip(SKIP_1) | instid1(VALU_DEP_1)
	v_rcp_f32_e32 v8, v2
	v_fma_f32 v12, 0x3fb8aa3b, v6, -v5
	v_fmamk_f32 v12, v6, 0x32a5705f, v12
	s_waitcnt_depctr 0xfff
	v_fma_f32 v9, -v2, v8, 1.0
	s_delay_alu instid0(VALU_DEP_1) | instskip(NEXT) | instid1(VALU_DEP_1)
	v_fmac_f32_e32 v8, v9, v8
	v_mul_f32_e32 v9, v10, v8
	s_delay_alu instid0(VALU_DEP_1) | instskip(NEXT) | instid1(VALU_DEP_1)
	v_fma_f32 v11, -v2, v9, v10
	v_fmac_f32_e32 v9, v11, v8
	v_rndne_f32_e32 v11, v5
	s_delay_alu instid0(VALU_DEP_2) | instskip(NEXT) | instid1(VALU_DEP_2)
	v_fma_f32 v2, -v2, v9, v10
	v_dual_mul_f32 v10, 0x4f800000, v6 :: v_dual_sub_f32 v5, v5, v11
	v_cvt_i32_f32_e32 v11, v11
	s_delay_alu instid0(VALU_DEP_3) | instskip(SKIP_1) | instid1(VALU_DEP_2)
	v_div_fmas_f32 v2, v2, v8, v9
	v_cmp_gt_f32_e32 vcc_lo, 0xf800000, v6
	v_div_fixup_f32 v2, v2, v6, 0x42000000
	v_cndmask_b32_e32 v10, v6, v10, vcc_lo
	s_delay_alu instid0(VALU_DEP_2) | instskip(NEXT) | instid1(VALU_DEP_2)
	v_add_f32_e32 v2, -2.0, v2
	v_sqrt_f32_e32 v13, v10
	s_delay_alu instid0(VALU_DEP_1) | instskip(SKIP_4) | instid1(VALU_DEP_2)
	v_dual_add_f32 v5, v5, v12 :: v_dual_fmaak_f32 v8, s0, v2, 0xa2b236d3
	s_waitcnt_depctr 0xfff
	v_dual_fmaak_f32 v9, v2, v8, 0x23056dbb :: v_dual_add_nc_u32 v12, -1, v13
	v_add_nc_u32_e32 v14, 1, v13
	v_exp_f32_e32 v5, v5
	v_add_f32_e32 v9, 0x244df0c1, v9
	s_delay_alu instid0(VALU_DEP_1) | instskip(SKIP_3) | instid1(VALU_DEP_1)
	v_fma_f32 v8, v2, v9, -v8
	s_waitcnt_depctr 0xfff
	v_ldexp_f32 v5, v5, v11
	v_add_f32_e32 v8, 0x241f9ee8, v8
	v_fma_f32 v9, v2, v8, -v9
	s_delay_alu instid0(VALU_DEP_1) | instskip(NEXT) | instid1(VALU_DEP_1)
	v_add_f32_e32 v9, 0xa5a3005d, v9
	v_fma_f32 v8, v2, v9, -v8
	s_delay_alu instid0(VALU_DEP_1) | instskip(NEXT) | instid1(VALU_DEP_1)
	;; [unrolled: 3-line block ×18, first 2 shown]
	v_add_f32_e32 v8, 0x3642095e, v8
	v_fma_f32 v9, v2, v8, -v9
	s_delay_alu instid0(VALU_DEP_1) | instskip(SKIP_2) | instid1(VALU_DEP_3)
	v_add_f32_e32 v9, 0x38907d1c, v9
	v_fma_f32 v15, -v12, v13, v10
	v_fma_f32 v16, -v14, v13, v10
	v_fma_f32 v8, v2, v9, -v8
	s_delay_alu instid0(VALU_DEP_3) | instskip(NEXT) | instid1(VALU_DEP_2)
	v_cmp_ge_f32_e64 s0, 0, v15
	v_add_f32_e32 v8, 0x3b5ccc65, v8
	s_delay_alu instid0(VALU_DEP_2) | instskip(SKIP_1) | instid1(VALU_DEP_3)
	v_cndmask_b32_e64 v12, v13, v12, s0
	v_cmp_lt_f32_e64 s0, 0, v16
	v_fma_f32 v2, v2, v8, -v9
	s_delay_alu instid0(VALU_DEP_2) | instskip(SKIP_1) | instid1(VALU_DEP_3)
	v_cndmask_b32_e64 v8, v12, v14, s0
	v_cmp_ngt_f32_e64 s0, 0xc2ce8ed0, v6
	v_add_f32_e32 v2, 0x3f4df315, v2
	s_delay_alu instid0(VALU_DEP_3) | instskip(NEXT) | instid1(VALU_DEP_3)
	v_mul_f32_e32 v11, 0x37800000, v8
	v_cndmask_b32_e64 v5, 0, v5, s0
	v_cmp_nlt_f32_e64 s0, 0x42b17218, v6
	s_delay_alu instid0(VALU_DEP_4) | instskip(NEXT) | instid1(VALU_DEP_4)
	v_sub_f32_e32 v2, v2, v9
	v_cndmask_b32_e32 v8, v8, v11, vcc_lo
	v_cmp_class_f32_e64 vcc_lo, v10, 0x260
	s_delay_alu instid0(VALU_DEP_4) | instskip(NEXT) | instid1(VALU_DEP_4)
	v_cndmask_b32_e64 v5, 0x7f800000, v5, s0
	v_mul_f32_e32 v2, 0.5, v2
	s_delay_alu instid0(VALU_DEP_4) | instskip(NEXT) | instid1(VALU_DEP_2)
	v_cndmask_b32_e32 v8, v8, v10, vcc_lo
	v_mul_f32_e32 v2, v5, v2
	s_delay_alu instid0(VALU_DEP_1) | instskip(NEXT) | instid1(VALU_DEP_1)
	v_div_scale_f32 v5, null, v8, v8, v2
	v_rcp_f32_e32 v9, v5
	s_waitcnt_depctr 0xfff
	v_fma_f32 v10, -v5, v9, 1.0
	s_delay_alu instid0(VALU_DEP_1) | instskip(SKIP_1) | instid1(VALU_DEP_1)
	v_fmac_f32_e32 v9, v10, v9
	v_div_scale_f32 v10, vcc_lo, v2, v8, v2
	v_mul_f32_e32 v11, v10, v9
	s_delay_alu instid0(VALU_DEP_1) | instskip(NEXT) | instid1(VALU_DEP_1)
	v_fma_f32 v12, -v5, v11, v10
	v_fmac_f32_e32 v11, v12, v9
	s_delay_alu instid0(VALU_DEP_1) | instskip(NEXT) | instid1(VALU_DEP_1)
	v_fma_f32 v5, -v5, v11, v10
	v_div_fmas_f32 v5, v5, v9, v11
	s_delay_alu instid0(VALU_DEP_1)
	v_div_fixup_f32 v2, v5, v8, v2
.LBB17_22:
	s_or_b32 exec_lo, exec_lo, s11
	v_cvt_f64_f32_e32 v[8:9], v6
	s_mov_b32 s13, 0x3fe55555
	s_mov_b32 s12, 0x55555555
	;; [unrolled: 1-line block ×3, first 2 shown]
	v_mov_b32_e32 v12, 0
	s_mov_b32 s16, 0x6b47b09a
	s_mov_b32 s18, 0xbf559e2b
	;; [unrolled: 1-line block ×4, first 2 shown]
	s_delay_alu instid0(VALU_DEP_2) | instskip(NEXT) | instid1(VALU_DEP_1)
	v_mul_f64 v[8:9], v[8:9], 0.5
	v_frexp_mant_f64_e32 v[10:11], v[8:9]
	v_frexp_exp_i32_f64_e32 v5, v[8:9]
	s_delay_alu instid0(VALU_DEP_2) | instskip(SKIP_2) | instid1(VALU_DEP_3)
	v_cmp_gt_f64_e32 vcc_lo, s[12:13], v[10:11]
	s_mov_b32 s12, 0x55555780
	v_cndmask_b32_e64 v13, 0x3ff00000, 2.0, vcc_lo
	v_subrev_co_ci_u32_e32 v5, vcc_lo, 0, v5, vcc_lo
	v_cmp_eq_f64_e32 vcc_lo, 0x7ff00000, v[8:9]
	s_delay_alu instid0(VALU_DEP_3) | instskip(NEXT) | instid1(VALU_DEP_1)
	v_mul_f64 v[10:11], v[10:11], v[12:13]
	v_add_f64 v[12:13], v[10:11], 1.0
	v_add_f64 v[18:19], v[10:11], -1.0
	s_delay_alu instid0(VALU_DEP_2) | instskip(SKIP_1) | instid1(VALU_DEP_1)
	v_rcp_f64_e32 v[14:15], v[12:13]
	v_add_f64 v[20:21], v[12:13], -1.0
	v_add_f64 v[10:11], v[10:11], -v[20:21]
	s_waitcnt_depctr 0xfff
	v_fma_f64 v[16:17], -v[12:13], v[14:15], 1.0
	s_delay_alu instid0(VALU_DEP_1) | instskip(NEXT) | instid1(VALU_DEP_1)
	v_fma_f64 v[14:15], v[16:17], v[14:15], v[14:15]
	v_fma_f64 v[16:17], -v[12:13], v[14:15], 1.0
	s_delay_alu instid0(VALU_DEP_1) | instskip(NEXT) | instid1(VALU_DEP_1)
	v_fma_f64 v[14:15], v[16:17], v[14:15], v[14:15]
	v_mul_f64 v[16:17], v[18:19], v[14:15]
	s_delay_alu instid0(VALU_DEP_1) | instskip(NEXT) | instid1(VALU_DEP_1)
	v_mul_f64 v[22:23], v[12:13], v[16:17]
	v_fma_f64 v[12:13], v[16:17], v[12:13], -v[22:23]
	s_delay_alu instid0(VALU_DEP_1) | instskip(NEXT) | instid1(VALU_DEP_1)
	v_fma_f64 v[10:11], v[16:17], v[10:11], v[12:13]
	v_add_f64 v[12:13], v[22:23], v[10:11]
	s_delay_alu instid0(VALU_DEP_1) | instskip(SKIP_1) | instid1(VALU_DEP_2)
	v_add_f64 v[20:21], v[18:19], -v[12:13]
	v_add_f64 v[22:23], v[12:13], -v[22:23]
	;; [unrolled: 1-line block ×3, first 2 shown]
	s_delay_alu instid0(VALU_DEP_2) | instskip(NEXT) | instid1(VALU_DEP_2)
	v_add_f64 v[10:11], v[22:23], -v[10:11]
	v_add_f64 v[12:13], v[18:19], -v[12:13]
	s_delay_alu instid0(VALU_DEP_1) | instskip(NEXT) | instid1(VALU_DEP_1)
	v_add_f64 v[10:11], v[10:11], v[12:13]
	v_add_f64 v[10:11], v[20:21], v[10:11]
	s_delay_alu instid0(VALU_DEP_1) | instskip(NEXT) | instid1(VALU_DEP_1)
	v_mul_f64 v[10:11], v[14:15], v[10:11]
	v_add_f64 v[12:13], v[16:17], v[10:11]
	s_delay_alu instid0(VALU_DEP_1) | instskip(NEXT) | instid1(VALU_DEP_1)
	v_mul_f64 v[14:15], v[12:13], v[12:13]
	v_fma_f64 v[18:19], v[14:15], s[18:19], s[16:17]
	s_mov_b32 s16, 0xd7f4df2e
	s_mov_b32 s17, 0x3fc7474d
	v_mul_f64 v[20:21], v[12:13], v[14:15]
	s_delay_alu instid0(VALU_DEP_2)
	v_fma_f64 v[18:19], v[14:15], v[18:19], s[16:17]
	s_mov_b32 s16, 0x16291751
	s_mov_b32 s17, 0x3fcc71c0
	s_delay_alu instid0(VALU_DEP_1) | instid1(SALU_CYCLE_1)
	v_fma_f64 v[18:19], v[14:15], v[18:19], s[16:17]
	s_mov_b32 s16, 0x9b27acf1
	s_mov_b32 s17, 0x3fd24924
	s_delay_alu instid0(VALU_DEP_1) | instid1(SALU_CYCLE_1)
	;; [unrolled: 4-line block ×3, first 2 shown]
	v_fma_f64 v[18:19], v[14:15], v[18:19], s[16:17]
	s_delay_alu instid0(VALU_DEP_1) | instskip(SKIP_4) | instid1(VALU_DEP_3)
	v_fma_f64 v[14:15], v[14:15], v[18:19], s[12:13]
	v_ldexp_f64 v[18:19], v[12:13], 1
	v_add_f64 v[12:13], v[12:13], -v[16:17]
	s_mov_b32 s12, 0xfefa39ef
	s_mov_b32 s13, 0x3fe62e42
	v_mul_f64 v[14:15], v[20:21], v[14:15]
	v_cvt_f64_i32_e32 v[20:21], v5
	s_delay_alu instid0(VALU_DEP_3) | instskip(NEXT) | instid1(VALU_DEP_3)
	v_add_f64 v[10:11], v[10:11], -v[12:13]
	v_add_f64 v[16:17], v[18:19], v[14:15]
	s_delay_alu instid0(VALU_DEP_3) | instskip(NEXT) | instid1(VALU_DEP_3)
	v_mul_f64 v[22:23], v[20:21], s[12:13]
	v_ldexp_f64 v[10:11], v[10:11], 1
	s_delay_alu instid0(VALU_DEP_3) | instskip(NEXT) | instid1(VALU_DEP_3)
	v_add_f64 v[12:13], v[16:17], -v[18:19]
	v_fma_f64 v[18:19], v[20:21], s[12:13], -v[22:23]
	s_mov_b32 s12, 0x3b39803f
	s_mov_b32 s13, 0x3c7abc9e
	s_delay_alu instid0(VALU_DEP_2) | instskip(NEXT) | instid1(VALU_DEP_2)
	v_add_f64 v[12:13], v[14:15], -v[12:13]
	v_fma_f64 v[14:15], v[20:21], s[12:13], v[18:19]
	s_delay_alu instid0(VALU_DEP_2) | instskip(NEXT) | instid1(VALU_DEP_2)
	v_add_f64 v[10:11], v[10:11], v[12:13]
	v_add_f64 v[12:13], v[22:23], v[14:15]
	s_delay_alu instid0(VALU_DEP_2) | instskip(NEXT) | instid1(VALU_DEP_2)
	v_add_f64 v[18:19], v[16:17], v[10:11]
	v_add_f64 v[22:23], v[12:13], -v[22:23]
	s_delay_alu instid0(VALU_DEP_2) | instskip(SKIP_1) | instid1(VALU_DEP_3)
	v_add_f64 v[20:21], v[12:13], v[18:19]
	v_add_f64 v[16:17], v[18:19], -v[16:17]
	v_add_f64 v[14:15], v[14:15], -v[22:23]
	s_delay_alu instid0(VALU_DEP_3) | instskip(NEXT) | instid1(VALU_DEP_3)
	v_add_f64 v[24:25], v[20:21], -v[12:13]
	v_add_f64 v[10:11], v[10:11], -v[16:17]
	s_delay_alu instid0(VALU_DEP_2) | instskip(SKIP_1) | instid1(VALU_DEP_3)
	v_add_f64 v[26:27], v[20:21], -v[24:25]
	v_add_f64 v[16:17], v[18:19], -v[24:25]
	v_add_f64 v[18:19], v[14:15], v[10:11]
	s_delay_alu instid0(VALU_DEP_3) | instskip(NEXT) | instid1(VALU_DEP_1)
	v_add_f64 v[12:13], v[12:13], -v[26:27]
	v_add_f64 v[12:13], v[16:17], v[12:13]
	s_delay_alu instid0(VALU_DEP_3) | instskip(NEXT) | instid1(VALU_DEP_2)
	v_add_f64 v[16:17], v[18:19], -v[14:15]
	v_add_f64 v[12:13], v[18:19], v[12:13]
	s_delay_alu instid0(VALU_DEP_2) | instskip(SKIP_1) | instid1(VALU_DEP_3)
	v_add_f64 v[18:19], v[18:19], -v[16:17]
	v_add_f64 v[10:11], v[10:11], -v[16:17]
	v_add_f64 v[22:23], v[20:21], v[12:13]
	s_delay_alu instid0(VALU_DEP_3) | instskip(NEXT) | instid1(VALU_DEP_2)
	v_add_f64 v[14:15], v[14:15], -v[18:19]
	v_add_f64 v[16:17], v[22:23], -v[20:21]
	s_delay_alu instid0(VALU_DEP_2) | instskip(SKIP_1) | instid1(VALU_DEP_1)
	v_add_f64 v[10:11], v[10:11], v[14:15]
	v_fma_f32 v14, v6, v6, -2.0
	v_fmaak_f32 v15, s0, v14, 0x293fd856
	s_delay_alu instid0(VALU_DEP_1) | instskip(SKIP_1) | instid1(VALU_DEP_2)
	v_fmaak_f32 v5, v14, v15, 0xa51e770f
	v_add_f64 v[12:13], v[12:13], -v[16:17]
	v_add_f32_e32 v16, 0x2d3612e2, v5
	s_delay_alu instid0(VALU_DEP_2) | instskip(NEXT) | instid1(VALU_DEP_2)
	v_add_f64 v[5:6], v[10:11], v[12:13]
	v_fma_f32 v10, v14, v16, -v15
	s_delay_alu instid0(VALU_DEP_2) | instskip(NEXT) | instid1(VALU_DEP_2)
	v_add_f64 v[5:6], v[22:23], v[5:6]
	v_add_f32_e32 v10, 0x3102e09b, v10
	s_delay_alu instid0(VALU_DEP_1) | instskip(NEXT) | instid1(VALU_DEP_1)
	v_fma_f32 v11, v14, v10, -v16
	v_add_f32_e32 v11, 0x348815e7, v11
	s_delay_alu instid0(VALU_DEP_1) | instskip(NEXT) | instid1(VALU_DEP_1)
	v_fma_f32 v10, v14, v11, -v10
	;; [unrolled: 3-line block ×3, first 2 shown]
	v_dual_add_f32 v11, 0x3aa5c174, v11 :: v_dual_cndmask_b32 v12, v5, v8
	s_delay_alu instid0(VALU_DEP_1) | instskip(NEXT) | instid1(VALU_DEP_1)
	v_fma_f32 v10, v14, v11, -v10
	v_add_f32_e32 v10, 0x3d135fb3, v10
	s_delay_alu instid0(VALU_DEP_1) | instskip(NEXT) | instid1(VALU_DEP_1)
	v_fma_f32 v11, v14, v10, -v11
	v_add_f32_e32 v11, 0x3eb046c4, v11
	s_delay_alu instid0(VALU_DEP_1) | instskip(NEXT) | instid1(VALU_DEP_1)
	v_fma_f32 v11, v14, v11, -v10
	v_add_f32_e32 v11, 0xbf090b37, v11
	s_delay_alu instid0(VALU_DEP_1) | instskip(SKIP_2) | instid1(VALU_DEP_3)
	v_dual_sub_f32 v10, v11, v10 :: v_dual_cndmask_b32 v11, v6, v9
	v_cmp_neq_f64_e32 vcc_lo, 0, v[8:9]
	v_cvt_f64_f32_e32 v[8:9], v2
	v_mul_f32_e32 v10, 0.5, v10
	s_delay_alu instid0(VALU_DEP_1) | instskip(SKIP_2) | instid1(VALU_DEP_1)
	v_cvt_f64_f32_e32 v[5:6], v10
	v_cndmask_b32_e32 v10, 0, v12, vcc_lo
	v_cndmask_b32_e32 v11, 0xfff00000, v11, vcc_lo
	v_fma_f64 v[5:6], -v[10:11], v[8:9], v[5:6]
	s_delay_alu instid0(VALU_DEP_1)
	v_cvt_f32_f64_e32 v2, v[5:6]
                                        ; implicit-def: $vgpr5_vgpr6
.LBB17_23:
	s_and_not1_saveexec_b32 s10, s10
	s_cbranch_execz .LBB17_25
; %bb.24:
	v_div_scale_f32 v2, null, v6, v6, 0x41000000
	v_div_scale_f32 v9, vcc_lo, 0x41000000, v6, 0x41000000
	s_mov_b32 s0, 0x22c38d2e
	s_delay_alu instid0(VALU_DEP_2) | instskip(SKIP_2) | instid1(VALU_DEP_1)
	v_rcp_f32_e32 v5, v2
	s_waitcnt_depctr 0xfff
	v_fma_f32 v8, -v2, v5, 1.0
	v_fmac_f32_e32 v5, v8, v5
	s_delay_alu instid0(VALU_DEP_1) | instskip(NEXT) | instid1(VALU_DEP_1)
	v_mul_f32_e32 v8, v9, v5
	v_fma_f32 v10, -v2, v8, v9
	s_delay_alu instid0(VALU_DEP_1) | instskip(SKIP_1) | instid1(VALU_DEP_2)
	v_fmac_f32_e32 v8, v10, v5
	v_mul_f32_e32 v10, 0xbfb8aa3b, v6
	v_fma_f32 v2, -v2, v8, v9
	v_mul_f32_e32 v9, 0x4f800000, v6
	s_delay_alu instid0(VALU_DEP_3) | instskip(SKIP_1) | instid1(VALU_DEP_4)
	v_rndne_f32_e32 v11, v10
	v_fma_f32 v12, 0xbfb8aa3b, v6, -v10
	v_div_fmas_f32 v2, v2, v5, v8
	v_cmp_gt_f32_e32 vcc_lo, 0xf800000, v6
	s_delay_alu instid0(VALU_DEP_4) | instskip(NEXT) | instid1(VALU_DEP_4)
	v_sub_f32_e32 v10, v10, v11
	v_fmamk_f32 v12, v6, 0xb2a5705f, v12
	v_cvt_i32_f32_e32 v11, v11
	v_div_fixup_f32 v2, v2, v6, 0x41000000
	v_cndmask_b32_e32 v9, v6, v9, vcc_lo
	s_delay_alu instid0(VALU_DEP_4) | instskip(NEXT) | instid1(VALU_DEP_3)
	v_add_f32_e32 v10, v10, v12
	v_add_f32_e32 v2, -2.0, v2
	s_delay_alu instid0(VALU_DEP_3) | instskip(NEXT) | instid1(VALU_DEP_2)
	v_sqrt_f32_e32 v13, v9
	v_exp_f32_e32 v10, v10
	s_delay_alu instid0(VALU_DEP_1) | instskip(NEXT) | instid1(VALU_DEP_1)
	v_fmaak_f32 v5, s0, v2, 0xa397f665
	v_fmaak_f32 v8, v2, v5, 0xa2c38d2e
	s_waitcnt_depctr 0xfff
	v_add_nc_u32_e32 v12, -1, v13
	v_add_nc_u32_e32 v14, 1, v13
	v_add_f32_e32 v8, 0x24704972, v8
	s_delay_alu instid0(VALU_DEP_3) | instskip(NEXT) | instid1(VALU_DEP_3)
	v_fma_f32 v15, -v12, v13, v9
	v_fma_f32 v16, -v14, v13, v9
	s_delay_alu instid0(VALU_DEP_3) | instskip(NEXT) | instid1(VALU_DEP_3)
	v_fma_f32 v5, v2, v8, -v5
	v_cmp_ge_f32_e64 s0, 0, v15
	s_delay_alu instid0(VALU_DEP_2) | instskip(NEXT) | instid1(VALU_DEP_2)
	v_add_f32_e32 v5, 0xa5417ca4, v5
	v_cndmask_b32_e64 v12, v13, v12, s0
	v_cmp_lt_f32_e64 s0, 0, v16
	s_delay_alu instid0(VALU_DEP_3) | instskip(NEXT) | instid1(VALU_DEP_1)
	v_fma_f32 v8, v2, v5, -v8
	v_add_f32_e32 v8, 0x261edfcb, v8
	s_delay_alu instid0(VALU_DEP_1) | instskip(NEXT) | instid1(VALU_DEP_1)
	v_fma_f32 v5, v2, v8, -v5
	v_add_f32_e32 v5, 0xa7053487, v5
	s_delay_alu instid0(VALU_DEP_1) | instskip(NEXT) | instid1(VALU_DEP_1)
	v_fma_f32 v8, v2, v5, -v8
	v_add_f32_e32 v8, 0x27e46ce2, v8
	s_delay_alu instid0(VALU_DEP_1) | instskip(NEXT) | instid1(VALU_DEP_1)
	v_fma_f32 v5, v2, v8, -v5
	v_add_f32_e32 v5, 0xa8c8a2f6, v5
	s_delay_alu instid0(VALU_DEP_1) | instskip(NEXT) | instid1(VALU_DEP_1)
	v_fma_f32 v8, v2, v5, -v8
	v_add_f32_e32 v8, 0x29b4e276, v8
	s_delay_alu instid0(VALU_DEP_1) | instskip(NEXT) | instid1(VALU_DEP_1)
	v_fma_f32 v5, v2, v8, -v5
	v_add_f32_e32 v5, 0xaaa7c3b9, v5
	s_delay_alu instid0(VALU_DEP_1) | instskip(NEXT) | instid1(VALU_DEP_1)
	v_fma_f32 v8, v2, v5, -v8
	v_add_f32_e32 v8, 0x2ba07d19, v8
	s_delay_alu instid0(VALU_DEP_1) | instskip(NEXT) | instid1(VALU_DEP_1)
	v_fma_f32 v5, v2, v8, -v5
	v_add_f32_e32 v5, 0xac9ed7e2, v5
	s_delay_alu instid0(VALU_DEP_1) | instskip(NEXT) | instid1(VALU_DEP_1)
	v_fma_f32 v8, v2, v5, -v8
	v_add_f32_e32 v8, 0x2da34042, v8
	s_delay_alu instid0(VALU_DEP_1) | instskip(NEXT) | instid1(VALU_DEP_1)
	v_fma_f32 v5, v2, v8, -v5
	v_add_f32_e32 v5, 0xaeaefcaf, v5
	s_delay_alu instid0(VALU_DEP_1) | instskip(NEXT) | instid1(VALU_DEP_1)
	v_fma_f32 v8, v2, v5, -v8
	v_add_f32_e32 v8, 0x2fc4ab64, v8
	s_delay_alu instid0(VALU_DEP_1) | instskip(NEXT) | instid1(VALU_DEP_1)
	v_fma_f32 v5, v2, v8, -v5
	v_add_f32_e32 v5, 0xb0e94eb0, v5
	s_delay_alu instid0(VALU_DEP_1) | instskip(NEXT) | instid1(VALU_DEP_1)
	v_fma_f32 v8, v2, v5, -v8
	v_add_f32_e32 v8, 0x32134d00, v8
	s_delay_alu instid0(VALU_DEP_1) | instskip(NEXT) | instid1(VALU_DEP_1)
	v_fma_f32 v5, v2, v8, -v5
	v_add_f32_e32 v5, 0xb3482aa1, v5
	s_delay_alu instid0(VALU_DEP_1) | instskip(NEXT) | instid1(VALU_DEP_1)
	v_fma_f32 v8, v2, v5, -v8
	v_add_f32_e32 v8, 0x34948acc, v8
	s_delay_alu instid0(VALU_DEP_1) | instskip(NEXT) | instid1(VALU_DEP_1)
	v_fma_f32 v5, v2, v8, -v5
	v_add_f32_e32 v5, 0xb5f5daa4, v5
	s_delay_alu instid0(VALU_DEP_1) | instskip(NEXT) | instid1(VALU_DEP_1)
	v_fma_f32 v8, v2, v5, -v8
	v_add_f32_e32 v8, 0x376a09fe, v8
	s_delay_alu instid0(VALU_DEP_1) | instskip(NEXT) | instid1(VALU_DEP_1)
	v_fma_f32 v5, v2, v8, -v5
	v_add_f32_e32 v5, 0xb906bcbf, v5
	s_delay_alu instid0(VALU_DEP_1) | instskip(NEXT) | instid1(VALU_DEP_1)
	v_fma_f32 v8, v2, v5, -v8
	v_add_f32_e32 v8, 0x3acdc490, v8
	s_delay_alu instid0(VALU_DEP_1) | instskip(NEXT) | instid1(VALU_DEP_1)
	v_fma_f32 v5, v2, v8, -v5
	v_add_f32_e32 v5, 0xbd00cfb9, v5
	s_delay_alu instid0(VALU_DEP_1) | instskip(SKIP_3) | instid1(VALU_DEP_4)
	v_fma_f32 v2, v2, v5, -v8
	v_ldexp_f32 v5, v10, v11
	v_cndmask_b32_e64 v10, v12, v14, s0
	v_cmp_nlt_f32_e64 s0, 0x42ce8ed0, v6
	v_add_f32_e32 v2, 0x401c2ded, v2
	s_delay_alu instid0(VALU_DEP_3) | instskip(NEXT) | instid1(VALU_DEP_3)
	v_mul_f32_e32 v11, 0x37800000, v10
	v_cndmask_b32_e64 v5, 0, v5, s0
	v_cmp_ngt_f32_e64 s0, 0xc2b17218, v6
	s_delay_alu instid0(VALU_DEP_4) | instskip(NEXT) | instid1(VALU_DEP_4)
	v_sub_f32_e32 v2, v2, v8
	v_cndmask_b32_e32 v6, v10, v11, vcc_lo
	v_cmp_class_f32_e64 vcc_lo, v9, 0x260
	s_delay_alu instid0(VALU_DEP_4) | instskip(NEXT) | instid1(VALU_DEP_4)
	v_cndmask_b32_e64 v5, 0x7f800000, v5, s0
	v_mul_f32_e32 v2, 0.5, v2
	s_delay_alu instid0(VALU_DEP_4) | instskip(NEXT) | instid1(VALU_DEP_2)
	v_cndmask_b32_e32 v6, v6, v9, vcc_lo
	v_mul_f32_e32 v2, v5, v2
	s_delay_alu instid0(VALU_DEP_1) | instskip(NEXT) | instid1(VALU_DEP_1)
	v_div_scale_f32 v5, null, v6, v6, v2
	v_rcp_f32_e32 v8, v5
	s_waitcnt_depctr 0xfff
	v_fma_f32 v9, -v5, v8, 1.0
	s_delay_alu instid0(VALU_DEP_1) | instskip(SKIP_1) | instid1(VALU_DEP_1)
	v_fmac_f32_e32 v8, v9, v8
	v_div_scale_f32 v9, vcc_lo, v2, v6, v2
	v_mul_f32_e32 v10, v9, v8
	s_delay_alu instid0(VALU_DEP_1) | instskip(NEXT) | instid1(VALU_DEP_1)
	v_fma_f32 v11, -v5, v10, v9
	v_fmac_f32_e32 v10, v11, v8
	s_delay_alu instid0(VALU_DEP_1) | instskip(NEXT) | instid1(VALU_DEP_1)
	v_fma_f32 v5, -v5, v10, v9
	v_div_fmas_f32 v5, v5, v8, v10
	s_delay_alu instid0(VALU_DEP_1)
	v_div_fixup_f32 v2, v5, v6, v2
.LBB17_25:
	s_or_b32 exec_lo, exec_lo, s10
.LBB17_26:
	s_delay_alu instid0(SALU_CYCLE_1)
	s_or_b32 exec_lo, exec_lo, s9
.LBB17_27:
	s_delay_alu instid0(SALU_CYCLE_1)
	s_or_b32 exec_lo, exec_lo, s1
	v_dual_mov_b32 v6, 0x7f800000 :: v_dual_mov_b32 v5, 0x7f800000
	s_mov_b32 s1, exec_lo
	s_waitcnt vmcnt(0)
	v_cmpx_neq_f32_e32 0, v3
	s_cbranch_execz .LBB17_39
; %bb.28:
	v_mov_b32_e32 v5, 0x7fc00000
	s_mov_b32 s9, exec_lo
	v_cmpx_ngt_f32_e32 0, v3
	s_cbranch_execz .LBB17_38
; %bb.29:
	s_mov_b32 s0, exec_lo
	v_cmpx_ge_f32_e32 2.0, v3
	s_xor_b32 s10, exec_lo, s0
	s_cbranch_execz .LBB17_35
; %bb.30:
	v_mul_f32_e32 v8, 0x3fb8aa3b, v3
	s_mov_b32 s0, exec_lo
                                        ; implicit-def: $vgpr5
	v_cmpx_ge_f32_e32 0x41000000, v3
	s_xor_b32 s0, exec_lo, s0
	s_cbranch_execz .LBB17_32
; %bb.31:
	v_fma_f32 v5, v3, 0.5, -2.0
	s_mov_b32 s11, 0xa2a2e5b9
	v_rndne_f32_e32 v11, v8
	v_fma_f32 v12, 0x3fb8aa3b, v3, -v8
	v_cmp_ngt_f32_e32 vcc_lo, 0xc2ce8ed0, v3
	s_delay_alu instid0(VALU_DEP_3) | instskip(NEXT) | instid1(VALU_DEP_3)
	v_dual_fmaak_f32 v9, s11, v5, 0x24199b15 :: v_dual_sub_f32 v8, v8, v11
	v_fmamk_f32 v12, v3, 0x32a5705f, v12
	v_cvt_i32_f32_e32 v11, v11
	s_delay_alu instid0(VALU_DEP_3) | instskip(NEXT) | instid1(VALU_DEP_3)
	v_fmaak_f32 v10, v5, v9, 0x22a2e5b9
	v_add_f32_e32 v8, v8, v12
	s_delay_alu instid0(VALU_DEP_2) | instskip(NEXT) | instid1(VALU_DEP_2)
	v_add_f32_e32 v10, 0xa58c275c, v10
	v_exp_f32_e32 v8, v8
	s_delay_alu instid0(VALU_DEP_1) | instskip(NEXT) | instid1(VALU_DEP_1)
	v_fma_f32 v9, v5, v10, -v9
	v_add_f32_e32 v9, 0x26f736c5, v9
	s_waitcnt_depctr 0xfff
	v_ldexp_f32 v8, v8, v11
	v_fma_f32 v10, v5, v9, -v10
	s_delay_alu instid0(VALU_DEP_2) | instskip(SKIP_1) | instid1(VALU_DEP_3)
	v_cndmask_b32_e32 v8, 0, v8, vcc_lo
	v_cmp_nlt_f32_e32 vcc_lo, 0x42b17218, v3
	v_add_f32_e32 v10, 0xa8528116, v10
	s_delay_alu instid0(VALU_DEP_3) | instskip(NEXT) | instid1(VALU_DEP_2)
	v_cndmask_b32_e32 v8, 0x7f800000, v8, vcc_lo
	v_fma_f32 v9, v5, v10, -v9
	s_delay_alu instid0(VALU_DEP_1) | instskip(NEXT) | instid1(VALU_DEP_1)
	v_add_f32_e32 v9, 0x29acda32, v9
	v_fma_f32 v10, v5, v9, -v10
	s_delay_alu instid0(VALU_DEP_1) | instskip(NEXT) | instid1(VALU_DEP_1)
	v_add_f32_e32 v10, 0xab08b263, v10
	;; [unrolled: 3-line block ×25, first 2 shown]
	v_sub_f32_e32 v5, v5, v9
	s_delay_alu instid0(VALU_DEP_1) | instskip(NEXT) | instid1(VALU_DEP_1)
	v_mul_f32_e32 v5, 0.5, v5
	v_mul_f32_e32 v5, v8, v5
                                        ; implicit-def: $vgpr8
.LBB17_32:
	s_and_not1_saveexec_b32 s11, s0
	s_cbranch_execz .LBB17_34
; %bb.33:
	v_div_scale_f32 v5, null, v3, v3, 0x42000000
	v_div_scale_f32 v11, vcc_lo, 0x42000000, v3, 0x42000000
	s_mov_b32 s0, 0xa3056dbb
	s_delay_alu instid0(VALU_DEP_2) | instskip(SKIP_1) | instid1(VALU_DEP_1)
	v_rcp_f32_e32 v9, v5
	v_fma_f32 v13, 0x3fb8aa3b, v3, -v8
	v_fmamk_f32 v13, v3, 0x32a5705f, v13
	s_waitcnt_depctr 0xfff
	v_fma_f32 v10, -v5, v9, 1.0
	s_delay_alu instid0(VALU_DEP_1) | instskip(NEXT) | instid1(VALU_DEP_1)
	v_fmac_f32_e32 v9, v10, v9
	v_mul_f32_e32 v10, v11, v9
	s_delay_alu instid0(VALU_DEP_1) | instskip(NEXT) | instid1(VALU_DEP_1)
	v_fma_f32 v12, -v5, v10, v11
	v_fmac_f32_e32 v10, v12, v9
	v_rndne_f32_e32 v12, v8
	s_delay_alu instid0(VALU_DEP_2) | instskip(NEXT) | instid1(VALU_DEP_2)
	v_fma_f32 v5, -v5, v10, v11
	v_dual_mul_f32 v11, 0x4f800000, v3 :: v_dual_sub_f32 v8, v8, v12
	v_cvt_i32_f32_e32 v12, v12
	s_delay_alu instid0(VALU_DEP_3) | instskip(SKIP_1) | instid1(VALU_DEP_2)
	v_div_fmas_f32 v5, v5, v9, v10
	v_cmp_gt_f32_e32 vcc_lo, 0xf800000, v3
	v_div_fixup_f32 v5, v5, v3, 0x42000000
	v_cndmask_b32_e32 v11, v3, v11, vcc_lo
	s_delay_alu instid0(VALU_DEP_2) | instskip(NEXT) | instid1(VALU_DEP_2)
	v_add_f32_e32 v5, -2.0, v5
	v_sqrt_f32_e32 v14, v11
	v_add_f32_e32 v8, v8, v13
	s_delay_alu instid0(VALU_DEP_2) | instskip(SKIP_4) | instid1(VALU_DEP_2)
	v_fmaak_f32 v9, s0, v5, 0xa2b236d3
	s_waitcnt_depctr 0xfff
	v_dual_fmaak_f32 v10, v5, v9, 0x23056dbb :: v_dual_add_nc_u32 v13, -1, v14
	v_add_nc_u32_e32 v15, 1, v14
	v_exp_f32_e32 v8, v8
	v_add_f32_e32 v10, 0x244df0c1, v10
	s_delay_alu instid0(VALU_DEP_3) | instskip(NEXT) | instid1(VALU_DEP_3)
	v_fma_f32 v16, -v13, v14, v11
	v_fma_f32 v17, -v15, v14, v11
	s_delay_alu instid0(VALU_DEP_3) | instskip(NEXT) | instid1(VALU_DEP_3)
	v_fma_f32 v9, v5, v10, -v9
	v_cmp_ge_f32_e64 s0, 0, v16
	s_waitcnt_depctr 0xfff
	v_ldexp_f32 v8, v8, v12
	v_add_f32_e32 v9, 0x241f9ee8, v9
	v_cndmask_b32_e64 v13, v14, v13, s0
	v_cmp_lt_f32_e64 s0, 0, v17
	s_delay_alu instid0(VALU_DEP_3) | instskip(NEXT) | instid1(VALU_DEP_1)
	v_fma_f32 v10, v5, v9, -v10
	v_add_f32_e32 v10, 0xa5a3005d, v10
	s_delay_alu instid0(VALU_DEP_1) | instskip(NEXT) | instid1(VALU_DEP_1)
	v_fma_f32 v9, v5, v10, -v9
	v_add_f32_e32 v9, 0xa5c5773f, v9
	s_delay_alu instid0(VALU_DEP_1) | instskip(NEXT) | instid1(VALU_DEP_1)
	;; [unrolled: 3-line block ×19, first 2 shown]
	v_fma_f32 v9, v5, v10, -v9
	v_add_f32_e32 v9, 0x3b5ccc65, v9
	s_delay_alu instid0(VALU_DEP_1) | instskip(SKIP_2) | instid1(VALU_DEP_3)
	v_fma_f32 v5, v5, v9, -v10
	v_cndmask_b32_e64 v9, v13, v15, s0
	v_cmp_ngt_f32_e64 s0, 0xc2ce8ed0, v3
	v_add_f32_e32 v5, 0x3f4df315, v5
	s_delay_alu instid0(VALU_DEP_3) | instskip(NEXT) | instid1(VALU_DEP_3)
	v_mul_f32_e32 v12, 0x37800000, v9
	v_cndmask_b32_e64 v8, 0, v8, s0
	v_cmp_nlt_f32_e64 s0, 0x42b17218, v3
	s_delay_alu instid0(VALU_DEP_4) | instskip(NEXT) | instid1(VALU_DEP_4)
	v_sub_f32_e32 v5, v5, v10
	v_cndmask_b32_e32 v9, v9, v12, vcc_lo
	v_cmp_class_f32_e64 vcc_lo, v11, 0x260
	s_delay_alu instid0(VALU_DEP_4) | instskip(NEXT) | instid1(VALU_DEP_4)
	v_cndmask_b32_e64 v8, 0x7f800000, v8, s0
	v_mul_f32_e32 v5, 0.5, v5
	s_delay_alu instid0(VALU_DEP_4) | instskip(NEXT) | instid1(VALU_DEP_2)
	v_cndmask_b32_e32 v9, v9, v11, vcc_lo
	v_mul_f32_e32 v5, v8, v5
	s_delay_alu instid0(VALU_DEP_1) | instskip(NEXT) | instid1(VALU_DEP_1)
	v_div_scale_f32 v8, null, v9, v9, v5
	v_rcp_f32_e32 v10, v8
	s_waitcnt_depctr 0xfff
	v_fma_f32 v11, -v8, v10, 1.0
	s_delay_alu instid0(VALU_DEP_1) | instskip(SKIP_1) | instid1(VALU_DEP_1)
	v_fmac_f32_e32 v10, v11, v10
	v_div_scale_f32 v11, vcc_lo, v5, v9, v5
	v_mul_f32_e32 v12, v11, v10
	s_delay_alu instid0(VALU_DEP_1) | instskip(NEXT) | instid1(VALU_DEP_1)
	v_fma_f32 v13, -v8, v12, v11
	v_fmac_f32_e32 v12, v13, v10
	s_delay_alu instid0(VALU_DEP_1) | instskip(NEXT) | instid1(VALU_DEP_1)
	v_fma_f32 v8, -v8, v12, v11
	v_div_fmas_f32 v8, v8, v10, v12
	s_delay_alu instid0(VALU_DEP_1)
	v_div_fixup_f32 v5, v8, v9, v5
.LBB17_34:
	s_or_b32 exec_lo, exec_lo, s11
	v_cvt_f64_f32_e32 v[8:9], v3
	s_mov_b32 s13, 0x3fe55555
	s_mov_b32 s12, 0x55555555
	;; [unrolled: 1-line block ×3, first 2 shown]
	v_mov_b32_e32 v12, 0
	s_mov_b32 s16, 0x6b47b09a
	s_mov_b32 s18, 0xbf559e2b
	;; [unrolled: 1-line block ×4, first 2 shown]
	s_delay_alu instid0(VALU_DEP_2) | instskip(NEXT) | instid1(VALU_DEP_1)
	v_mul_f64 v[8:9], v[8:9], 0.5
	v_frexp_mant_f64_e32 v[10:11], v[8:9]
	s_delay_alu instid0(VALU_DEP_1) | instskip(SKIP_2) | instid1(VALU_DEP_1)
	v_cmp_gt_f64_e32 vcc_lo, s[12:13], v[10:11]
	s_mov_b32 s12, 0x55555780
	v_cndmask_b32_e64 v13, 0x3ff00000, 2.0, vcc_lo
	v_mul_f64 v[10:11], v[10:11], v[12:13]
	s_delay_alu instid0(VALU_DEP_1) | instskip(SKIP_1) | instid1(VALU_DEP_2)
	v_add_f64 v[12:13], v[10:11], 1.0
	v_add_f64 v[18:19], v[10:11], -1.0
	v_rcp_f64_e32 v[14:15], v[12:13]
	v_add_f64 v[20:21], v[12:13], -1.0
	s_delay_alu instid0(VALU_DEP_1) | instskip(SKIP_2) | instid1(VALU_DEP_1)
	v_add_f64 v[10:11], v[10:11], -v[20:21]
	s_waitcnt_depctr 0xfff
	v_fma_f64 v[16:17], -v[12:13], v[14:15], 1.0
	v_fma_f64 v[14:15], v[16:17], v[14:15], v[14:15]
	s_delay_alu instid0(VALU_DEP_1) | instskip(NEXT) | instid1(VALU_DEP_1)
	v_fma_f64 v[16:17], -v[12:13], v[14:15], 1.0
	v_fma_f64 v[14:15], v[16:17], v[14:15], v[14:15]
	s_delay_alu instid0(VALU_DEP_1) | instskip(NEXT) | instid1(VALU_DEP_1)
	v_mul_f64 v[16:17], v[18:19], v[14:15]
	v_mul_f64 v[22:23], v[12:13], v[16:17]
	s_delay_alu instid0(VALU_DEP_1) | instskip(NEXT) | instid1(VALU_DEP_1)
	v_fma_f64 v[12:13], v[16:17], v[12:13], -v[22:23]
	v_fma_f64 v[10:11], v[16:17], v[10:11], v[12:13]
	s_delay_alu instid0(VALU_DEP_1) | instskip(NEXT) | instid1(VALU_DEP_1)
	v_add_f64 v[12:13], v[22:23], v[10:11]
	v_add_f64 v[20:21], v[18:19], -v[12:13]
	v_add_f64 v[22:23], v[12:13], -v[22:23]
	s_delay_alu instid0(VALU_DEP_2) | instskip(NEXT) | instid1(VALU_DEP_2)
	v_add_f64 v[18:19], v[18:19], -v[20:21]
	v_add_f64 v[10:11], v[22:23], -v[10:11]
	v_frexp_exp_i32_f64_e32 v22, v[8:9]
	s_delay_alu instid0(VALU_DEP_3) | instskip(NEXT) | instid1(VALU_DEP_1)
	v_add_f64 v[12:13], v[18:19], -v[12:13]
	v_add_f64 v[10:11], v[10:11], v[12:13]
	s_delay_alu instid0(VALU_DEP_1) | instskip(NEXT) | instid1(VALU_DEP_1)
	v_add_f64 v[10:11], v[20:21], v[10:11]
	v_mul_f64 v[10:11], v[14:15], v[10:11]
	s_delay_alu instid0(VALU_DEP_1) | instskip(NEXT) | instid1(VALU_DEP_1)
	v_add_f64 v[12:13], v[16:17], v[10:11]
	v_mul_f64 v[14:15], v[12:13], v[12:13]
	s_delay_alu instid0(VALU_DEP_1) | instskip(SKIP_3) | instid1(VALU_DEP_2)
	v_fma_f64 v[18:19], v[14:15], s[18:19], s[16:17]
	s_mov_b32 s16, 0xd7f4df2e
	s_mov_b32 s17, 0x3fc7474d
	v_mul_f64 v[20:21], v[12:13], v[14:15]
	v_fma_f64 v[18:19], v[14:15], v[18:19], s[16:17]
	s_mov_b32 s16, 0x16291751
	s_mov_b32 s17, 0x3fcc71c0
	s_delay_alu instid0(VALU_DEP_1) | instid1(SALU_CYCLE_1)
	v_fma_f64 v[18:19], v[14:15], v[18:19], s[16:17]
	s_mov_b32 s16, 0x9b27acf1
	s_mov_b32 s17, 0x3fd24924
	s_delay_alu instid0(VALU_DEP_1) | instid1(SALU_CYCLE_1)
	;; [unrolled: 4-line block ×3, first 2 shown]
	v_fma_f64 v[18:19], v[14:15], v[18:19], s[16:17]
	s_delay_alu instid0(VALU_DEP_1) | instskip(SKIP_4) | instid1(VALU_DEP_3)
	v_fma_f64 v[14:15], v[14:15], v[18:19], s[12:13]
	v_ldexp_f64 v[18:19], v[12:13], 1
	v_add_f64 v[12:13], v[12:13], -v[16:17]
	s_mov_b32 s12, 0xfefa39ef
	s_mov_b32 s13, 0x3fe62e42
	v_mul_f64 v[14:15], v[20:21], v[14:15]
	v_subrev_co_ci_u32_e32 v20, vcc_lo, 0, v22, vcc_lo
	s_delay_alu instid0(VALU_DEP_3) | instskip(SKIP_1) | instid1(VALU_DEP_3)
	v_add_f64 v[10:11], v[10:11], -v[12:13]
	v_cmp_eq_f64_e32 vcc_lo, 0x7ff00000, v[8:9]
	v_cvt_f64_i32_e32 v[20:21], v20
	v_add_f64 v[16:17], v[18:19], v[14:15]
	s_delay_alu instid0(VALU_DEP_4) | instskip(NEXT) | instid1(VALU_DEP_3)
	v_ldexp_f64 v[10:11], v[10:11], 1
	v_mul_f64 v[22:23], v[20:21], s[12:13]
	s_delay_alu instid0(VALU_DEP_3) | instskip(NEXT) | instid1(VALU_DEP_2)
	v_add_f64 v[12:13], v[16:17], -v[18:19]
	v_fma_f64 v[18:19], v[20:21], s[12:13], -v[22:23]
	s_mov_b32 s12, 0x3b39803f
	s_mov_b32 s13, 0x3c7abc9e
	s_delay_alu instid0(VALU_DEP_2) | instskip(NEXT) | instid1(VALU_DEP_2)
	v_add_f64 v[12:13], v[14:15], -v[12:13]
	v_fma_f64 v[14:15], v[20:21], s[12:13], v[18:19]
	s_delay_alu instid0(VALU_DEP_2) | instskip(NEXT) | instid1(VALU_DEP_2)
	v_add_f64 v[10:11], v[10:11], v[12:13]
	v_add_f64 v[12:13], v[22:23], v[14:15]
	s_delay_alu instid0(VALU_DEP_2) | instskip(NEXT) | instid1(VALU_DEP_2)
	v_add_f64 v[18:19], v[16:17], v[10:11]
	v_add_f64 v[22:23], v[12:13], -v[22:23]
	s_delay_alu instid0(VALU_DEP_2) | instskip(SKIP_1) | instid1(VALU_DEP_3)
	v_add_f64 v[20:21], v[12:13], v[18:19]
	v_add_f64 v[16:17], v[18:19], -v[16:17]
	v_add_f64 v[14:15], v[14:15], -v[22:23]
	s_delay_alu instid0(VALU_DEP_3) | instskip(NEXT) | instid1(VALU_DEP_3)
	v_add_f64 v[24:25], v[20:21], -v[12:13]
	v_add_f64 v[10:11], v[10:11], -v[16:17]
	s_delay_alu instid0(VALU_DEP_2) | instskip(SKIP_1) | instid1(VALU_DEP_3)
	v_add_f64 v[26:27], v[20:21], -v[24:25]
	v_add_f64 v[16:17], v[18:19], -v[24:25]
	v_add_f64 v[18:19], v[14:15], v[10:11]
	s_delay_alu instid0(VALU_DEP_3) | instskip(NEXT) | instid1(VALU_DEP_1)
	v_add_f64 v[12:13], v[12:13], -v[26:27]
	v_add_f64 v[12:13], v[16:17], v[12:13]
	s_delay_alu instid0(VALU_DEP_3) | instskip(NEXT) | instid1(VALU_DEP_2)
	v_add_f64 v[16:17], v[18:19], -v[14:15]
	v_add_f64 v[12:13], v[18:19], v[12:13]
	s_delay_alu instid0(VALU_DEP_2) | instskip(SKIP_1) | instid1(VALU_DEP_3)
	v_add_f64 v[18:19], v[18:19], -v[16:17]
	v_add_f64 v[10:11], v[10:11], -v[16:17]
	v_add_f64 v[22:23], v[20:21], v[12:13]
	s_delay_alu instid0(VALU_DEP_3) | instskip(NEXT) | instid1(VALU_DEP_2)
	v_add_f64 v[14:15], v[14:15], -v[18:19]
	v_add_f64 v[16:17], v[22:23], -v[20:21]
	s_delay_alu instid0(VALU_DEP_2) | instskip(SKIP_1) | instid1(VALU_DEP_1)
	v_add_f64 v[10:11], v[10:11], v[14:15]
	v_fma_f32 v14, v3, v3, -2.0
	v_fmaak_f32 v15, s0, v14, 0x293fd856
	s_delay_alu instid0(VALU_DEP_4) | instskip(NEXT) | instid1(VALU_DEP_1)
	v_add_f64 v[12:13], v[12:13], -v[16:17]
	v_add_f64 v[10:11], v[10:11], v[12:13]
	s_delay_alu instid0(VALU_DEP_1) | instskip(NEXT) | instid1(VALU_DEP_4)
	v_add_f64 v[10:11], v[22:23], v[10:11]
	v_fmaak_f32 v16, v14, v15, 0xa51e770f
	s_delay_alu instid0(VALU_DEP_1) | instskip(NEXT) | instid1(VALU_DEP_1)
	v_add_f32_e32 v16, 0x2d3612e2, v16
	v_fma_f32 v12, v14, v16, -v15
	s_delay_alu instid0(VALU_DEP_1) | instskip(NEXT) | instid1(VALU_DEP_1)
	v_add_f32_e32 v12, 0x3102e09b, v12
	v_fma_f32 v13, v14, v12, -v16
	;; [unrolled: 3-line block ×7, first 2 shown]
	s_delay_alu instid0(VALU_DEP_1) | instskip(NEXT) | instid1(VALU_DEP_1)
	v_dual_cndmask_b32 v14, v10, v8 :: v_dual_add_f32 v13, 0xbf090b37, v13
	v_dual_sub_f32 v12, v13, v12 :: v_dual_cndmask_b32 v13, v11, v9
	v_cmp_neq_f64_e32 vcc_lo, 0, v[8:9]
	v_cvt_f64_f32_e32 v[10:11], v5
	s_delay_alu instid0(VALU_DEP_3) | instskip(NEXT) | instid1(VALU_DEP_1)
	v_dual_cndmask_b32 v13, 0xfff00000, v13 :: v_dual_mul_f32 v12, 0.5, v12
	v_cvt_f64_f32_e32 v[8:9], v12
	v_cndmask_b32_e32 v12, 0, v14, vcc_lo
	s_delay_alu instid0(VALU_DEP_1) | instskip(NEXT) | instid1(VALU_DEP_1)
	v_fma_f64 v[8:9], -v[12:13], v[10:11], v[8:9]
	v_cvt_f32_f64_e32 v5, v[8:9]
.LBB17_35:
	s_and_not1_saveexec_b32 s10, s10
	s_cbranch_execz .LBB17_37
; %bb.36:
	v_div_scale_f32 v5, null, v3, v3, 0x41000000
	v_div_scale_f32 v10, vcc_lo, 0x41000000, v3, 0x41000000
	s_mov_b32 s0, 0x22c38d2e
	s_delay_alu instid0(VALU_DEP_2) | instskip(SKIP_2) | instid1(VALU_DEP_1)
	v_rcp_f32_e32 v8, v5
	s_waitcnt_depctr 0xfff
	v_fma_f32 v9, -v5, v8, 1.0
	v_fmac_f32_e32 v8, v9, v8
	s_delay_alu instid0(VALU_DEP_1) | instskip(NEXT) | instid1(VALU_DEP_1)
	v_mul_f32_e32 v9, v10, v8
	v_fma_f32 v11, -v5, v9, v10
	s_delay_alu instid0(VALU_DEP_1) | instskip(SKIP_1) | instid1(VALU_DEP_2)
	v_fmac_f32_e32 v9, v11, v8
	v_mul_f32_e32 v11, 0xbfb8aa3b, v3
	v_fma_f32 v5, -v5, v9, v10
	v_mul_f32_e32 v10, 0x4f800000, v3
	s_delay_alu instid0(VALU_DEP_3) | instskip(SKIP_1) | instid1(VALU_DEP_4)
	v_rndne_f32_e32 v12, v11
	v_fma_f32 v13, 0xbfb8aa3b, v3, -v11
	v_div_fmas_f32 v5, v5, v8, v9
	v_cmp_gt_f32_e32 vcc_lo, 0xf800000, v3
	s_delay_alu instid0(VALU_DEP_4) | instskip(NEXT) | instid1(VALU_DEP_4)
	v_sub_f32_e32 v11, v11, v12
	v_fmamk_f32 v13, v3, 0xb2a5705f, v13
	v_cvt_i32_f32_e32 v12, v12
	v_div_fixup_f32 v5, v5, v3, 0x41000000
	v_cndmask_b32_e32 v10, v3, v10, vcc_lo
	s_delay_alu instid0(VALU_DEP_4) | instskip(NEXT) | instid1(VALU_DEP_3)
	v_add_f32_e32 v11, v11, v13
	v_add_f32_e32 v5, -2.0, v5
	s_delay_alu instid0(VALU_DEP_3) | instskip(NEXT) | instid1(VALU_DEP_2)
	v_sqrt_f32_e32 v14, v10
	v_exp_f32_e32 v11, v11
	s_delay_alu instid0(VALU_DEP_1) | instskip(NEXT) | instid1(VALU_DEP_1)
	v_fmaak_f32 v8, s0, v5, 0xa397f665
	v_fmaak_f32 v9, v5, v8, 0xa2c38d2e
	s_waitcnt_depctr 0xfff
	v_add_nc_u32_e32 v13, -1, v14
	v_add_nc_u32_e32 v15, 1, v14
	v_add_f32_e32 v9, 0x24704972, v9
	s_delay_alu instid0(VALU_DEP_3) | instskip(NEXT) | instid1(VALU_DEP_3)
	v_fma_f32 v16, -v13, v14, v10
	v_fma_f32 v17, -v15, v14, v10
	s_delay_alu instid0(VALU_DEP_3) | instskip(NEXT) | instid1(VALU_DEP_3)
	v_fma_f32 v8, v5, v9, -v8
	v_cmp_ge_f32_e64 s0, 0, v16
	s_delay_alu instid0(VALU_DEP_2) | instskip(NEXT) | instid1(VALU_DEP_2)
	v_add_f32_e32 v8, 0xa5417ca4, v8
	v_cndmask_b32_e64 v13, v14, v13, s0
	v_cmp_lt_f32_e64 s0, 0, v17
	s_delay_alu instid0(VALU_DEP_3) | instskip(NEXT) | instid1(VALU_DEP_1)
	v_fma_f32 v9, v5, v8, -v9
	v_add_f32_e32 v9, 0x261edfcb, v9
	s_delay_alu instid0(VALU_DEP_1) | instskip(NEXT) | instid1(VALU_DEP_1)
	v_fma_f32 v8, v5, v9, -v8
	v_add_f32_e32 v8, 0xa7053487, v8
	s_delay_alu instid0(VALU_DEP_1) | instskip(NEXT) | instid1(VALU_DEP_1)
	;; [unrolled: 3-line block ×19, first 2 shown]
	v_fma_f32 v8, v5, v9, -v8
	v_add_f32_e32 v8, 0xbd00cfb9, v8
	s_delay_alu instid0(VALU_DEP_1) | instskip(SKIP_3) | instid1(VALU_DEP_4)
	v_fma_f32 v5, v5, v8, -v9
	v_ldexp_f32 v8, v11, v12
	v_cndmask_b32_e64 v11, v13, v15, s0
	v_cmp_nlt_f32_e64 s0, 0x42ce8ed0, v3
	v_add_f32_e32 v5, 0x401c2ded, v5
	s_delay_alu instid0(VALU_DEP_3) | instskip(NEXT) | instid1(VALU_DEP_3)
	v_mul_f32_e32 v12, 0x37800000, v11
	v_cndmask_b32_e64 v8, 0, v8, s0
	v_cmp_ngt_f32_e64 s0, 0xc2b17218, v3
	s_delay_alu instid0(VALU_DEP_4) | instskip(NEXT) | instid1(VALU_DEP_2)
	v_sub_f32_e32 v5, v5, v9
	v_cndmask_b32_e64 v3, 0x7f800000, v8, s0
	s_delay_alu instid0(VALU_DEP_2) | instskip(SKIP_1) | instid1(VALU_DEP_2)
	v_dual_cndmask_b32 v8, v11, v12 :: v_dual_mul_f32 v5, 0.5, v5
	v_cmp_class_f32_e64 vcc_lo, v10, 0x260
	v_dual_mul_f32 v3, v3, v5 :: v_dual_cndmask_b32 v8, v8, v10
	s_delay_alu instid0(VALU_DEP_1) | instskip(NEXT) | instid1(VALU_DEP_1)
	v_div_scale_f32 v5, null, v8, v8, v3
	v_rcp_f32_e32 v9, v5
	s_waitcnt_depctr 0xfff
	v_fma_f32 v10, -v5, v9, 1.0
	s_delay_alu instid0(VALU_DEP_1) | instskip(SKIP_1) | instid1(VALU_DEP_1)
	v_fmac_f32_e32 v9, v10, v9
	v_div_scale_f32 v10, vcc_lo, v3, v8, v3
	v_mul_f32_e32 v11, v10, v9
	s_delay_alu instid0(VALU_DEP_1) | instskip(NEXT) | instid1(VALU_DEP_1)
	v_fma_f32 v12, -v5, v11, v10
	v_fmac_f32_e32 v11, v12, v9
	s_delay_alu instid0(VALU_DEP_1) | instskip(NEXT) | instid1(VALU_DEP_1)
	v_fma_f32 v5, -v5, v11, v10
	v_div_fmas_f32 v5, v5, v9, v11
	s_delay_alu instid0(VALU_DEP_1)
	v_div_fixup_f32 v5, v5, v8, v3
.LBB17_37:
	s_or_b32 exec_lo, exec_lo, s10
.LBB17_38:
	s_delay_alu instid0(SALU_CYCLE_1)
	s_or_b32 exec_lo, exec_lo, s9
.LBB17_39:
	s_delay_alu instid0(SALU_CYCLE_1) | instskip(NEXT) | instid1(SALU_CYCLE_1)
	s_or_b32 exec_lo, exec_lo, s1
	s_mov_b32 s1, exec_lo
	v_cmpx_neq_f32_e32 0, v4
	s_cbranch_execz .LBB17_51
; %bb.40:
	v_mov_b32_e32 v6, 0x7fc00000
	s_mov_b32 s9, exec_lo
	v_cmpx_ngt_f32_e32 0, v4
	s_cbranch_execz .LBB17_50
; %bb.41:
	s_mov_b32 s0, exec_lo
	v_cmpx_ge_f32_e32 2.0, v4
	s_xor_b32 s10, exec_lo, s0
	s_cbranch_execz .LBB17_47
; %bb.42:
	v_mul_f32_e32 v6, 0x3fb8aa3b, v4
	s_mov_b32 s0, exec_lo
                                        ; implicit-def: $vgpr3
	v_cmpx_ge_f32_e32 0x41000000, v4
	s_xor_b32 s0, exec_lo, s0
	s_cbranch_execz .LBB17_44
; %bb.43:
	v_fma_f32 v3, v4, 0.5, -2.0
	s_mov_b32 s11, 0xa2a2e5b9
	v_rndne_f32_e32 v10, v6
	v_fma_f32 v11, 0x3fb8aa3b, v4, -v6
	v_cmp_ngt_f32_e32 vcc_lo, 0xc2ce8ed0, v4
	v_fmaak_f32 v8, s11, v3, 0x24199b15
	s_delay_alu instid0(VALU_DEP_3) | instskip(SKIP_1) | instid1(VALU_DEP_2)
	v_dual_sub_f32 v6, v6, v10 :: v_dual_fmamk_f32 v11, v4, 0x32a5705f, v11
	v_cvt_i32_f32_e32 v10, v10
	v_dual_fmaak_f32 v9, v3, v8, 0x22a2e5b9 :: v_dual_add_f32 v6, v6, v11
	s_delay_alu instid0(VALU_DEP_1) | instskip(NEXT) | instid1(VALU_DEP_2)
	v_add_f32_e32 v9, 0xa58c275c, v9
	v_exp_f32_e32 v6, v6
	s_delay_alu instid0(VALU_DEP_1) | instskip(NEXT) | instid1(VALU_DEP_1)
	v_fma_f32 v8, v3, v9, -v8
	v_add_f32_e32 v8, 0x26f736c5, v8
	s_waitcnt_depctr 0xfff
	v_ldexp_f32 v6, v6, v10
	v_fma_f32 v9, v3, v8, -v9
	s_delay_alu instid0(VALU_DEP_2) | instskip(SKIP_1) | instid1(VALU_DEP_3)
	v_cndmask_b32_e32 v6, 0, v6, vcc_lo
	v_cmp_nlt_f32_e32 vcc_lo, 0x42b17218, v4
	v_add_f32_e32 v9, 0xa8528116, v9
	s_delay_alu instid0(VALU_DEP_3) | instskip(NEXT) | instid1(VALU_DEP_2)
	v_cndmask_b32_e32 v6, 0x7f800000, v6, vcc_lo
	v_fma_f32 v8, v3, v9, -v8
	s_delay_alu instid0(VALU_DEP_1) | instskip(NEXT) | instid1(VALU_DEP_1)
	v_add_f32_e32 v8, 0x29acda32, v8
	v_fma_f32 v9, v3, v8, -v9
	s_delay_alu instid0(VALU_DEP_1) | instskip(NEXT) | instid1(VALU_DEP_1)
	v_add_f32_e32 v9, 0xab08b263, v9
	;; [unrolled: 3-line block ×25, first 2 shown]
	v_sub_f32_e32 v3, v3, v8
	s_delay_alu instid0(VALU_DEP_1) | instskip(NEXT) | instid1(VALU_DEP_1)
	v_mul_f32_e32 v3, 0.5, v3
	v_mul_f32_e32 v3, v6, v3
                                        ; implicit-def: $vgpr6
.LBB17_44:
	s_and_not1_saveexec_b32 s11, s0
	s_cbranch_execz .LBB17_46
; %bb.45:
	v_div_scale_f32 v3, null, v4, v4, 0x42000000
	v_div_scale_f32 v10, vcc_lo, 0x42000000, v4, 0x42000000
	s_mov_b32 s0, 0xa3056dbb
	s_delay_alu instid0(VALU_DEP_2) | instskip(SKIP_1) | instid1(VALU_DEP_1)
	v_rcp_f32_e32 v8, v3
	v_fma_f32 v12, 0x3fb8aa3b, v4, -v6
	v_fmamk_f32 v12, v4, 0x32a5705f, v12
	s_waitcnt_depctr 0xfff
	v_fma_f32 v9, -v3, v8, 1.0
	s_delay_alu instid0(VALU_DEP_1) | instskip(NEXT) | instid1(VALU_DEP_1)
	v_fmac_f32_e32 v8, v9, v8
	v_mul_f32_e32 v9, v10, v8
	s_delay_alu instid0(VALU_DEP_1) | instskip(NEXT) | instid1(VALU_DEP_1)
	v_fma_f32 v11, -v3, v9, v10
	v_fmac_f32_e32 v9, v11, v8
	v_rndne_f32_e32 v11, v6
	s_delay_alu instid0(VALU_DEP_2) | instskip(SKIP_1) | instid1(VALU_DEP_3)
	v_fma_f32 v3, -v3, v9, v10
	v_mul_f32_e32 v10, 0x4f800000, v4
	v_sub_f32_e32 v6, v6, v11
	v_cvt_i32_f32_e32 v11, v11
	s_delay_alu instid0(VALU_DEP_4) | instskip(SKIP_1) | instid1(VALU_DEP_4)
	v_div_fmas_f32 v3, v3, v8, v9
	v_cmp_gt_f32_e32 vcc_lo, 0xf800000, v4
	v_add_f32_e32 v6, v6, v12
	s_delay_alu instid0(VALU_DEP_3) | instskip(SKIP_1) | instid1(VALU_DEP_3)
	v_div_fixup_f32 v3, v3, v4, 0x42000000
	v_cndmask_b32_e32 v10, v4, v10, vcc_lo
	v_exp_f32_e32 v6, v6
	s_delay_alu instid0(VALU_DEP_2) | instskip(NEXT) | instid1(VALU_DEP_2)
	v_add_f32_e32 v3, -2.0, v3
	v_sqrt_f32_e32 v13, v10
	s_delay_alu instid0(VALU_DEP_1) | instskip(SKIP_3) | instid1(VALU_DEP_1)
	v_fmaak_f32 v8, s0, v3, 0xa2b236d3
	s_waitcnt_depctr 0xfff
	v_ldexp_f32 v6, v6, v11
	v_dual_fmaak_f32 v9, v3, v8, 0x23056dbb :: v_dual_add_nc_u32 v14, 1, v13
	v_add_f32_e32 v9, 0x244df0c1, v9
	s_delay_alu instid0(VALU_DEP_2) | instskip(NEXT) | instid1(VALU_DEP_2)
	v_fma_f32 v16, -v14, v13, v10
	v_fma_f32 v8, v3, v9, -v8
	s_delay_alu instid0(VALU_DEP_1) | instskip(NEXT) | instid1(VALU_DEP_1)
	v_add_f32_e32 v8, 0x241f9ee8, v8
	v_fma_f32 v9, v3, v8, -v9
	s_delay_alu instid0(VALU_DEP_1) | instskip(NEXT) | instid1(VALU_DEP_1)
	v_add_f32_e32 v9, 0xa5a3005d, v9
	;; [unrolled: 3-line block ×21, first 2 shown]
	v_fma_f32 v3, v3, v8, -v9
	s_delay_alu instid0(VALU_DEP_1) | instskip(NEXT) | instid1(VALU_DEP_1)
	v_dual_add_f32 v3, 0x3f4df315, v3 :: v_dual_add_nc_u32 v12, -1, v13
	v_fma_f32 v15, -v12, v13, v10
	s_delay_alu instid0(VALU_DEP_2) | instskip(NEXT) | instid1(VALU_DEP_2)
	v_sub_f32_e32 v3, v3, v9
	v_cmp_ge_f32_e64 s0, 0, v15
	s_delay_alu instid0(VALU_DEP_2) | instskip(NEXT) | instid1(VALU_DEP_2)
	v_mul_f32_e32 v3, 0.5, v3
	v_cndmask_b32_e64 v12, v13, v12, s0
	v_cmp_lt_f32_e64 s0, 0, v16
	s_delay_alu instid0(VALU_DEP_1) | instskip(SKIP_1) | instid1(VALU_DEP_2)
	v_cndmask_b32_e64 v8, v12, v14, s0
	v_cmp_ngt_f32_e64 s0, 0xc2ce8ed0, v4
	v_mul_f32_e32 v11, 0x37800000, v8
	s_delay_alu instid0(VALU_DEP_2) | instskip(SKIP_1) | instid1(VALU_DEP_3)
	v_cndmask_b32_e64 v6, 0, v6, s0
	v_cmp_nlt_f32_e64 s0, 0x42b17218, v4
	v_cndmask_b32_e32 v8, v8, v11, vcc_lo
	v_cmp_class_f32_e64 vcc_lo, v10, 0x260
	s_delay_alu instid0(VALU_DEP_3) | instskip(NEXT) | instid1(VALU_DEP_1)
	v_cndmask_b32_e64 v6, 0x7f800000, v6, s0
	v_dual_cndmask_b32 v8, v8, v10 :: v_dual_mul_f32 v3, v6, v3
	s_delay_alu instid0(VALU_DEP_1) | instskip(NEXT) | instid1(VALU_DEP_1)
	v_div_scale_f32 v6, null, v8, v8, v3
	v_rcp_f32_e32 v9, v6
	s_waitcnt_depctr 0xfff
	v_fma_f32 v10, -v6, v9, 1.0
	s_delay_alu instid0(VALU_DEP_1) | instskip(SKIP_1) | instid1(VALU_DEP_1)
	v_fmac_f32_e32 v9, v10, v9
	v_div_scale_f32 v10, vcc_lo, v3, v8, v3
	v_mul_f32_e32 v11, v10, v9
	s_delay_alu instid0(VALU_DEP_1) | instskip(NEXT) | instid1(VALU_DEP_1)
	v_fma_f32 v12, -v6, v11, v10
	v_fmac_f32_e32 v11, v12, v9
	s_delay_alu instid0(VALU_DEP_1) | instskip(NEXT) | instid1(VALU_DEP_1)
	v_fma_f32 v6, -v6, v11, v10
	v_div_fmas_f32 v6, v6, v9, v11
	s_delay_alu instid0(VALU_DEP_1)
	v_div_fixup_f32 v3, v6, v8, v3
.LBB17_46:
	s_or_b32 exec_lo, exec_lo, s11
	v_cvt_f64_f32_e32 v[8:9], v4
	s_mov_b32 s13, 0x3fe55555
	s_mov_b32 s12, 0x55555555
	v_mov_b32_e32 v12, 0
	s_mov_b32 s16, 0x6b47b09a
	s_mov_b32 s18, 0xbf559e2b
	;; [unrolled: 1-line block ×4, first 2 shown]
	v_fma_f32 v4, v4, v4, -2.0
	s_mov_b32 s0, 0x251e770f
	s_delay_alu instid0(VALU_DEP_3) | instskip(NEXT) | instid1(VALU_DEP_1)
	v_mul_f64 v[8:9], v[8:9], 0.5
	v_frexp_mant_f64_e32 v[10:11], v[8:9]
	v_frexp_exp_i32_f64_e32 v6, v[8:9]
	s_delay_alu instid0(VALU_DEP_2) | instskip(SKIP_2) | instid1(VALU_DEP_3)
	v_cmp_gt_f64_e32 vcc_lo, s[12:13], v[10:11]
	s_mov_b32 s12, 0x55555780
	v_cndmask_b32_e64 v13, 0x3ff00000, 2.0, vcc_lo
	v_subrev_co_ci_u32_e32 v6, vcc_lo, 0, v6, vcc_lo
	v_cmp_eq_f64_e32 vcc_lo, 0x7ff00000, v[8:9]
	s_delay_alu instid0(VALU_DEP_3) | instskip(NEXT) | instid1(VALU_DEP_1)
	v_mul_f64 v[10:11], v[10:11], v[12:13]
	v_add_f64 v[12:13], v[10:11], 1.0
	v_add_f64 v[18:19], v[10:11], -1.0
	s_delay_alu instid0(VALU_DEP_2) | instskip(SKIP_1) | instid1(VALU_DEP_1)
	v_rcp_f64_e32 v[14:15], v[12:13]
	v_add_f64 v[20:21], v[12:13], -1.0
	v_add_f64 v[10:11], v[10:11], -v[20:21]
	s_waitcnt_depctr 0xfff
	v_fma_f64 v[16:17], -v[12:13], v[14:15], 1.0
	s_delay_alu instid0(VALU_DEP_1) | instskip(NEXT) | instid1(VALU_DEP_1)
	v_fma_f64 v[14:15], v[16:17], v[14:15], v[14:15]
	v_fma_f64 v[16:17], -v[12:13], v[14:15], 1.0
	s_delay_alu instid0(VALU_DEP_1) | instskip(NEXT) | instid1(VALU_DEP_1)
	v_fma_f64 v[14:15], v[16:17], v[14:15], v[14:15]
	v_mul_f64 v[16:17], v[18:19], v[14:15]
	s_delay_alu instid0(VALU_DEP_1) | instskip(NEXT) | instid1(VALU_DEP_1)
	v_mul_f64 v[22:23], v[12:13], v[16:17]
	v_fma_f64 v[12:13], v[16:17], v[12:13], -v[22:23]
	s_delay_alu instid0(VALU_DEP_1) | instskip(NEXT) | instid1(VALU_DEP_1)
	v_fma_f64 v[10:11], v[16:17], v[10:11], v[12:13]
	v_add_f64 v[12:13], v[22:23], v[10:11]
	s_delay_alu instid0(VALU_DEP_1) | instskip(SKIP_1) | instid1(VALU_DEP_2)
	v_add_f64 v[20:21], v[18:19], -v[12:13]
	v_add_f64 v[22:23], v[12:13], -v[22:23]
	;; [unrolled: 1-line block ×3, first 2 shown]
	s_delay_alu instid0(VALU_DEP_2) | instskip(NEXT) | instid1(VALU_DEP_2)
	v_add_f64 v[10:11], v[22:23], -v[10:11]
	v_add_f64 v[12:13], v[18:19], -v[12:13]
	s_delay_alu instid0(VALU_DEP_1) | instskip(NEXT) | instid1(VALU_DEP_1)
	v_add_f64 v[10:11], v[10:11], v[12:13]
	v_add_f64 v[10:11], v[20:21], v[10:11]
	s_delay_alu instid0(VALU_DEP_1) | instskip(NEXT) | instid1(VALU_DEP_1)
	v_mul_f64 v[10:11], v[14:15], v[10:11]
	v_add_f64 v[12:13], v[16:17], v[10:11]
	s_delay_alu instid0(VALU_DEP_1) | instskip(NEXT) | instid1(VALU_DEP_1)
	v_mul_f64 v[14:15], v[12:13], v[12:13]
	v_fma_f64 v[18:19], v[14:15], s[18:19], s[16:17]
	s_mov_b32 s16, 0xd7f4df2e
	s_mov_b32 s17, 0x3fc7474d
	v_mul_f64 v[20:21], v[12:13], v[14:15]
	s_delay_alu instid0(VALU_DEP_2)
	v_fma_f64 v[18:19], v[14:15], v[18:19], s[16:17]
	s_mov_b32 s16, 0x16291751
	s_mov_b32 s17, 0x3fcc71c0
	s_delay_alu instid0(VALU_DEP_1) | instid1(SALU_CYCLE_1)
	v_fma_f64 v[18:19], v[14:15], v[18:19], s[16:17]
	s_mov_b32 s16, 0x9b27acf1
	s_mov_b32 s17, 0x3fd24924
	s_delay_alu instid0(VALU_DEP_1) | instid1(SALU_CYCLE_1)
	v_fma_f64 v[18:19], v[14:15], v[18:19], s[16:17]
	s_mov_b32 s16, 0x998ef7b6
	s_mov_b32 s17, 0x3fd99999
	s_delay_alu instid0(VALU_DEP_1) | instid1(SALU_CYCLE_1)
	v_fma_f64 v[18:19], v[14:15], v[18:19], s[16:17]
	s_delay_alu instid0(VALU_DEP_1) | instskip(SKIP_4) | instid1(VALU_DEP_3)
	v_fma_f64 v[14:15], v[14:15], v[18:19], s[12:13]
	v_ldexp_f64 v[18:19], v[12:13], 1
	v_add_f64 v[12:13], v[12:13], -v[16:17]
	s_mov_b32 s12, 0xfefa39ef
	s_mov_b32 s13, 0x3fe62e42
	v_mul_f64 v[14:15], v[20:21], v[14:15]
	v_cvt_f64_i32_e32 v[20:21], v6
	s_delay_alu instid0(VALU_DEP_3) | instskip(SKIP_1) | instid1(VALU_DEP_4)
	v_add_f64 v[10:11], v[10:11], -v[12:13]
	v_fmaak_f32 v6, s0, v4, 0x293fd856
	v_add_f64 v[16:17], v[18:19], v[14:15]
	s_delay_alu instid0(VALU_DEP_4) | instskip(NEXT) | instid1(VALU_DEP_4)
	v_mul_f64 v[22:23], v[20:21], s[12:13]
	v_ldexp_f64 v[10:11], v[10:11], 1
	s_delay_alu instid0(VALU_DEP_3) | instskip(NEXT) | instid1(VALU_DEP_3)
	v_add_f64 v[12:13], v[16:17], -v[18:19]
	v_fma_f64 v[18:19], v[20:21], s[12:13], -v[22:23]
	s_mov_b32 s12, 0x3b39803f
	s_mov_b32 s13, 0x3c7abc9e
	s_delay_alu instid0(VALU_DEP_2) | instskip(NEXT) | instid1(VALU_DEP_2)
	v_add_f64 v[12:13], v[14:15], -v[12:13]
	v_fma_f64 v[14:15], v[20:21], s[12:13], v[18:19]
	s_delay_alu instid0(VALU_DEP_2) | instskip(NEXT) | instid1(VALU_DEP_2)
	v_add_f64 v[10:11], v[10:11], v[12:13]
	v_add_f64 v[12:13], v[22:23], v[14:15]
	s_delay_alu instid0(VALU_DEP_2) | instskip(NEXT) | instid1(VALU_DEP_2)
	v_add_f64 v[18:19], v[16:17], v[10:11]
	v_add_f64 v[22:23], v[12:13], -v[22:23]
	s_delay_alu instid0(VALU_DEP_2) | instskip(SKIP_1) | instid1(VALU_DEP_3)
	v_add_f64 v[20:21], v[12:13], v[18:19]
	v_add_f64 v[16:17], v[18:19], -v[16:17]
	v_add_f64 v[14:15], v[14:15], -v[22:23]
	s_delay_alu instid0(VALU_DEP_3) | instskip(NEXT) | instid1(VALU_DEP_3)
	v_add_f64 v[24:25], v[20:21], -v[12:13]
	v_add_f64 v[10:11], v[10:11], -v[16:17]
	s_delay_alu instid0(VALU_DEP_2) | instskip(SKIP_1) | instid1(VALU_DEP_3)
	v_add_f64 v[26:27], v[20:21], -v[24:25]
	v_add_f64 v[16:17], v[18:19], -v[24:25]
	v_add_f64 v[18:19], v[14:15], v[10:11]
	s_delay_alu instid0(VALU_DEP_3) | instskip(NEXT) | instid1(VALU_DEP_1)
	v_add_f64 v[12:13], v[12:13], -v[26:27]
	v_add_f64 v[12:13], v[16:17], v[12:13]
	s_delay_alu instid0(VALU_DEP_3) | instskip(NEXT) | instid1(VALU_DEP_2)
	v_add_f64 v[16:17], v[18:19], -v[14:15]
	v_add_f64 v[12:13], v[18:19], v[12:13]
	s_delay_alu instid0(VALU_DEP_2) | instskip(SKIP_1) | instid1(VALU_DEP_3)
	v_add_f64 v[18:19], v[18:19], -v[16:17]
	v_add_f64 v[10:11], v[10:11], -v[16:17]
	v_add_f64 v[22:23], v[20:21], v[12:13]
	s_delay_alu instid0(VALU_DEP_3) | instskip(NEXT) | instid1(VALU_DEP_2)
	v_add_f64 v[14:15], v[14:15], -v[18:19]
	v_add_f64 v[16:17], v[22:23], -v[20:21]
	s_delay_alu instid0(VALU_DEP_2) | instskip(SKIP_1) | instid1(VALU_DEP_1)
	v_add_f64 v[10:11], v[10:11], v[14:15]
	v_fmaak_f32 v14, v4, v6, 0xa51e770f
	v_add_f32_e32 v14, 0x2d3612e2, v14
	s_delay_alu instid0(VALU_DEP_1) | instskip(NEXT) | instid1(VALU_DEP_1)
	v_fma_f32 v6, v4, v14, -v6
	v_add_f32_e32 v6, 0x3102e09b, v6
	v_add_f64 v[12:13], v[12:13], -v[16:17]
	s_delay_alu instid0(VALU_DEP_1) | instskip(NEXT) | instid1(VALU_DEP_3)
	v_add_f64 v[10:11], v[10:11], v[12:13]
	v_fma_f32 v12, v4, v6, -v14
	s_delay_alu instid0(VALU_DEP_1) | instskip(NEXT) | instid1(VALU_DEP_1)
	v_add_f32_e32 v12, 0x348815e7, v12
	v_fma_f32 v6, v4, v12, -v6
	s_delay_alu instid0(VALU_DEP_1) | instskip(NEXT) | instid1(VALU_DEP_1)
	v_add_f32_e32 v6, 0x37bfc808, v6
	;; [unrolled: 3-line block ×3, first 2 shown]
	v_fma_f32 v6, v4, v12, -v6
	s_delay_alu instid0(VALU_DEP_1) | instskip(SKIP_1) | instid1(VALU_DEP_2)
	v_add_f32_e32 v6, 0x3d135fb3, v6
	v_add_f64 v[10:11], v[22:23], v[10:11]
	v_fma_f32 v12, v4, v6, -v12
	s_delay_alu instid0(VALU_DEP_1) | instskip(NEXT) | instid1(VALU_DEP_1)
	v_add_f32_e32 v12, 0x3eb046c4, v12
	v_fma_f32 v4, v4, v12, -v6
	s_delay_alu instid0(VALU_DEP_1) | instskip(NEXT) | instid1(VALU_DEP_1)
	v_add_f32_e32 v4, 0xbf090b37, v4
	v_sub_f32_e32 v4, v4, v6
	s_delay_alu instid0(VALU_DEP_1) | instskip(SKIP_3) | instid1(VALU_DEP_4)
	v_mul_f32_e32 v4, 0.5, v4
	v_cndmask_b32_e32 v6, v10, v8, vcc_lo
	v_cndmask_b32_e32 v10, v11, v9, vcc_lo
	v_cmp_neq_f64_e32 vcc_lo, 0, v[8:9]
	v_cvt_f64_f32_e32 v[8:9], v4
	v_cvt_f64_f32_e32 v[3:4], v3
	s_delay_alu instid0(VALU_DEP_4) | instskip(SKIP_1) | instid1(VALU_DEP_1)
	v_cndmask_b32_e32 v11, 0xfff00000, v10, vcc_lo
	v_cndmask_b32_e32 v10, 0, v6, vcc_lo
	v_fma_f64 v[3:4], -v[10:11], v[3:4], v[8:9]
	s_delay_alu instid0(VALU_DEP_1)
	v_cvt_f32_f64_e32 v6, v[3:4]
                                        ; implicit-def: $vgpr3_vgpr4
.LBB17_47:
	s_and_not1_saveexec_b32 s10, s10
	s_cbranch_execz .LBB17_49
; %bb.48:
	v_div_scale_f32 v3, null, v4, v4, 0x41000000
	v_div_scale_f32 v9, vcc_lo, 0x41000000, v4, 0x41000000
	s_mov_b32 s0, 0x22c38d2e
	s_delay_alu instid0(VALU_DEP_2) | instskip(SKIP_2) | instid1(VALU_DEP_1)
	v_rcp_f32_e32 v6, v3
	s_waitcnt_depctr 0xfff
	v_fma_f32 v8, -v3, v6, 1.0
	v_fmac_f32_e32 v6, v8, v6
	s_delay_alu instid0(VALU_DEP_1) | instskip(NEXT) | instid1(VALU_DEP_1)
	v_mul_f32_e32 v8, v9, v6
	v_fma_f32 v10, -v3, v8, v9
	s_delay_alu instid0(VALU_DEP_1) | instskip(SKIP_1) | instid1(VALU_DEP_2)
	v_fmac_f32_e32 v8, v10, v6
	v_mul_f32_e32 v10, 0xbfb8aa3b, v4
	v_fma_f32 v3, -v3, v8, v9
	v_mul_f32_e32 v9, 0x4f800000, v4
	s_delay_alu instid0(VALU_DEP_3) | instskip(SKIP_1) | instid1(VALU_DEP_4)
	v_rndne_f32_e32 v11, v10
	v_fma_f32 v12, 0xbfb8aa3b, v4, -v10
	v_div_fmas_f32 v3, v3, v6, v8
	v_cmp_gt_f32_e32 vcc_lo, 0xf800000, v4
	s_delay_alu instid0(VALU_DEP_4) | instskip(NEXT) | instid1(VALU_DEP_4)
	v_sub_f32_e32 v10, v10, v11
	v_fmamk_f32 v12, v4, 0xb2a5705f, v12
	v_cvt_i32_f32_e32 v11, v11
	v_div_fixup_f32 v3, v3, v4, 0x41000000
	v_cndmask_b32_e32 v9, v4, v9, vcc_lo
	s_delay_alu instid0(VALU_DEP_2) | instskip(NEXT) | instid1(VALU_DEP_2)
	v_add_f32_e32 v3, -2.0, v3
	v_sqrt_f32_e32 v13, v9
	s_delay_alu instid0(VALU_DEP_1) | instskip(NEXT) | instid1(VALU_DEP_1)
	v_fmaak_f32 v6, s0, v3, 0xa397f665
	v_fmaak_f32 v8, v3, v6, 0xa2c38d2e
	s_waitcnt_depctr 0xfff
	v_add_nc_u32_e32 v14, 1, v13
	v_add_f32_e32 v8, 0x24704972, v8
	s_delay_alu instid0(VALU_DEP_2) | instskip(NEXT) | instid1(VALU_DEP_2)
	v_fma_f32 v16, -v14, v13, v9
	v_fma_f32 v6, v3, v8, -v6
	s_delay_alu instid0(VALU_DEP_1) | instskip(NEXT) | instid1(VALU_DEP_1)
	v_add_f32_e32 v6, 0xa5417ca4, v6
	v_fma_f32 v8, v3, v6, -v8
	s_delay_alu instid0(VALU_DEP_1) | instskip(NEXT) | instid1(VALU_DEP_1)
	v_add_f32_e32 v8, 0x261edfcb, v8
	;; [unrolled: 3-line block ×21, first 2 shown]
	v_fma_f32 v3, v3, v6, -v8
	v_add_f32_e32 v10, v10, v12
	s_delay_alu instid0(VALU_DEP_2) | instskip(NEXT) | instid1(VALU_DEP_2)
	v_dual_add_f32 v3, 0x401c2ded, v3 :: v_dual_add_nc_u32 v12, -1, v13
	v_exp_f32_e32 v10, v10
	s_delay_alu instid0(VALU_DEP_1) | instskip(NEXT) | instid1(VALU_DEP_2)
	v_fma_f32 v15, -v12, v13, v9
	v_sub_f32_e32 v3, v3, v8
	s_delay_alu instid0(VALU_DEP_2) | instskip(NEXT) | instid1(VALU_DEP_2)
	v_cmp_ge_f32_e64 s0, 0, v15
	v_mul_f32_e32 v3, 0.5, v3
	s_waitcnt_depctr 0xfff
	v_ldexp_f32 v6, v10, v11
	v_cndmask_b32_e64 v12, v13, v12, s0
	v_cmp_lt_f32_e64 s0, 0, v16
	s_delay_alu instid0(VALU_DEP_1) | instskip(SKIP_1) | instid1(VALU_DEP_2)
	v_cndmask_b32_e64 v10, v12, v14, s0
	v_cmp_nlt_f32_e64 s0, 0x42ce8ed0, v4
	v_mul_f32_e32 v11, 0x37800000, v10
	s_delay_alu instid0(VALU_DEP_2) | instskip(SKIP_1) | instid1(VALU_DEP_1)
	v_cndmask_b32_e64 v6, 0, v6, s0
	v_cmp_ngt_f32_e64 s0, 0xc2b17218, v4
	v_cndmask_b32_e64 v4, 0x7f800000, v6, s0
	s_delay_alu instid0(VALU_DEP_4) | instskip(SKIP_1) | instid1(VALU_DEP_2)
	v_cndmask_b32_e32 v6, v10, v11, vcc_lo
	v_cmp_class_f32_e64 vcc_lo, v9, 0x260
	v_dual_mul_f32 v3, v4, v3 :: v_dual_cndmask_b32 v6, v6, v9
	s_delay_alu instid0(VALU_DEP_1) | instskip(NEXT) | instid1(VALU_DEP_1)
	v_div_scale_f32 v4, null, v6, v6, v3
	v_rcp_f32_e32 v8, v4
	s_waitcnt_depctr 0xfff
	v_fma_f32 v9, -v4, v8, 1.0
	s_delay_alu instid0(VALU_DEP_1) | instskip(SKIP_1) | instid1(VALU_DEP_1)
	v_fmac_f32_e32 v8, v9, v8
	v_div_scale_f32 v9, vcc_lo, v3, v6, v3
	v_mul_f32_e32 v10, v9, v8
	s_delay_alu instid0(VALU_DEP_1) | instskip(NEXT) | instid1(VALU_DEP_1)
	v_fma_f32 v11, -v4, v10, v9
	v_fmac_f32_e32 v10, v11, v8
	s_delay_alu instid0(VALU_DEP_1) | instskip(NEXT) | instid1(VALU_DEP_1)
	v_fma_f32 v4, -v4, v10, v9
	v_div_fmas_f32 v4, v4, v8, v10
	s_delay_alu instid0(VALU_DEP_1)
	v_div_fixup_f32 v6, v4, v6, v3
.LBB17_49:
	s_or_b32 exec_lo, exec_lo, s10
.LBB17_50:
	s_delay_alu instid0(SALU_CYCLE_1)
	s_or_b32 exec_lo, exec_lo, s9
.LBB17_51:
	s_delay_alu instid0(SALU_CYCLE_1)
	s_or_b32 exec_lo, exec_lo, s1
	s_add_u32 s2, s4, s2
	s_addc_u32 s3, s5, s3
	s_clause 0x1
	global_store_b64 v7, v[1:2], s[2:3]
	global_store_b64 v7, v[5:6], s[2:3] offset:2048
	s_branch .LBB17_2
.LBB17_52:
	v_dual_mov_b32 v31, v0 :: v_dual_mov_b32 v0, s4
	v_dual_mov_b32 v1, s5 :: v_dual_mov_b32 v2, s6
	;; [unrolled: 1-line block ×3, first 2 shown]
	s_mov_b32 s12, s15
	s_getpc_b64 s[0:1]
	s_add_u32 s0, s0, _ZN2at6native25elementwise_kernel_helperILb0EZZZNS0_12_GLOBAL__N_130modified_bessel_k0_kernel_cudaERNS_18TensorIteratorBaseEENKUlvE_clEvENKUlvE0_clEvEUlfE_NS0_6memory8policies11unroll_baseILi256ESt5arrayIPcLm2EE23TrivialOffsetCalculatorILi1EjESF_NS8_15LoadWithoutCastENS8_16StoreWithoutCastELi4ELi1EEEEEvT0_T1_@rel32@lo+4
	s_addc_u32 s1, s1, _ZN2at6native25elementwise_kernel_helperILb0EZZZNS0_12_GLOBAL__N_130modified_bessel_k0_kernel_cudaERNS_18TensorIteratorBaseEENKUlvE_clEvENKUlvE0_clEvEUlfE_NS0_6memory8policies11unroll_baseILi256ESt5arrayIPcLm2EE23TrivialOffsetCalculatorILi1EjESF_NS8_15LoadWithoutCastENS8_16StoreWithoutCastELi4ELi1EEEEEvT0_T1_@rel32@hi+12
	s_delay_alu instid0(SALU_CYCLE_1)
	s_swappc_b64 s[30:31], s[0:1]
	s_endpgm
	.section	.rodata,"a",@progbits
	.p2align	6, 0x0
	.amdhsa_kernel _ZN2at6native29vectorized_elementwise_kernelILi2EZZZNS0_12_GLOBAL__N_130modified_bessel_k0_kernel_cudaERNS_18TensorIteratorBaseEENKUlvE_clEvENKUlvE0_clEvEUlfE_St5arrayIPcLm2EEEEviT0_T1_
		.amdhsa_group_segment_fixed_size 0
		.amdhsa_private_segment_fixed_size 0
		.amdhsa_kernarg_size 24
		.amdhsa_user_sgpr_count 15
		.amdhsa_user_sgpr_dispatch_ptr 0
		.amdhsa_user_sgpr_queue_ptr 0
		.amdhsa_user_sgpr_kernarg_segment_ptr 1
		.amdhsa_user_sgpr_dispatch_id 0
		.amdhsa_user_sgpr_private_segment_size 0
		.amdhsa_wavefront_size32 1
		.amdhsa_uses_dynamic_stack 0
		.amdhsa_enable_private_segment 0
		.amdhsa_system_sgpr_workgroup_id_x 1
		.amdhsa_system_sgpr_workgroup_id_y 0
		.amdhsa_system_sgpr_workgroup_id_z 0
		.amdhsa_system_sgpr_workgroup_info 0
		.amdhsa_system_vgpr_workitem_id 0
		.amdhsa_next_free_vgpr 35
		.amdhsa_next_free_sgpr 33
		.amdhsa_reserve_vcc 1
		.amdhsa_float_round_mode_32 0
		.amdhsa_float_round_mode_16_64 0
		.amdhsa_float_denorm_mode_32 3
		.amdhsa_float_denorm_mode_16_64 3
		.amdhsa_dx10_clamp 1
		.amdhsa_ieee_mode 1
		.amdhsa_fp16_overflow 0
		.amdhsa_workgroup_processor_mode 1
		.amdhsa_memory_ordered 1
		.amdhsa_forward_progress 0
		.amdhsa_shared_vgpr_count 0
		.amdhsa_exception_fp_ieee_invalid_op 0
		.amdhsa_exception_fp_denorm_src 0
		.amdhsa_exception_fp_ieee_div_zero 0
		.amdhsa_exception_fp_ieee_overflow 0
		.amdhsa_exception_fp_ieee_underflow 0
		.amdhsa_exception_fp_ieee_inexact 0
		.amdhsa_exception_int_div_zero 0
	.end_amdhsa_kernel
	.section	.text._ZN2at6native29vectorized_elementwise_kernelILi2EZZZNS0_12_GLOBAL__N_130modified_bessel_k0_kernel_cudaERNS_18TensorIteratorBaseEENKUlvE_clEvENKUlvE0_clEvEUlfE_St5arrayIPcLm2EEEEviT0_T1_,"axG",@progbits,_ZN2at6native29vectorized_elementwise_kernelILi2EZZZNS0_12_GLOBAL__N_130modified_bessel_k0_kernel_cudaERNS_18TensorIteratorBaseEENKUlvE_clEvENKUlvE0_clEvEUlfE_St5arrayIPcLm2EEEEviT0_T1_,comdat
.Lfunc_end17:
	.size	_ZN2at6native29vectorized_elementwise_kernelILi2EZZZNS0_12_GLOBAL__N_130modified_bessel_k0_kernel_cudaERNS_18TensorIteratorBaseEENKUlvE_clEvENKUlvE0_clEvEUlfE_St5arrayIPcLm2EEEEviT0_T1_, .Lfunc_end17-_ZN2at6native29vectorized_elementwise_kernelILi2EZZZNS0_12_GLOBAL__N_130modified_bessel_k0_kernel_cudaERNS_18TensorIteratorBaseEENKUlvE_clEvENKUlvE0_clEvEUlfE_St5arrayIPcLm2EEEEviT0_T1_
                                        ; -- End function
	.section	.AMDGPU.csdata,"",@progbits
; Kernel info:
; codeLenInByte = 15452
; NumSgprs: 35
; NumVgprs: 35
; ScratchSize: 0
; MemoryBound: 0
; FloatMode: 240
; IeeeMode: 1
; LDSByteSize: 0 bytes/workgroup (compile time only)
; SGPRBlocks: 4
; VGPRBlocks: 4
; NumSGPRsForWavesPerEU: 35
; NumVGPRsForWavesPerEU: 35
; Occupancy: 16
; WaveLimiterHint : 1
; COMPUTE_PGM_RSRC2:SCRATCH_EN: 0
; COMPUTE_PGM_RSRC2:USER_SGPR: 15
; COMPUTE_PGM_RSRC2:TRAP_HANDLER: 0
; COMPUTE_PGM_RSRC2:TGID_X_EN: 1
; COMPUTE_PGM_RSRC2:TGID_Y_EN: 0
; COMPUTE_PGM_RSRC2:TGID_Z_EN: 0
; COMPUTE_PGM_RSRC2:TIDIG_COMP_CNT: 0
	.section	.text._ZN2at6native27unrolled_elementwise_kernelIZZZNS0_12_GLOBAL__N_130modified_bessel_k0_kernel_cudaERNS_18TensorIteratorBaseEENKUlvE_clEvENKUlvE0_clEvEUlfE_St5arrayIPcLm2EELi4E23TrivialOffsetCalculatorILi1EjESC_NS0_6memory15LoadWithoutCastENSD_16StoreWithoutCastEEEviT_T0_T2_T3_T4_T5_,"axG",@progbits,_ZN2at6native27unrolled_elementwise_kernelIZZZNS0_12_GLOBAL__N_130modified_bessel_k0_kernel_cudaERNS_18TensorIteratorBaseEENKUlvE_clEvENKUlvE0_clEvEUlfE_St5arrayIPcLm2EELi4E23TrivialOffsetCalculatorILi1EjESC_NS0_6memory15LoadWithoutCastENSD_16StoreWithoutCastEEEviT_T0_T2_T3_T4_T5_,comdat
	.globl	_ZN2at6native27unrolled_elementwise_kernelIZZZNS0_12_GLOBAL__N_130modified_bessel_k0_kernel_cudaERNS_18TensorIteratorBaseEENKUlvE_clEvENKUlvE0_clEvEUlfE_St5arrayIPcLm2EELi4E23TrivialOffsetCalculatorILi1EjESC_NS0_6memory15LoadWithoutCastENSD_16StoreWithoutCastEEEviT_T0_T2_T3_T4_T5_ ; -- Begin function _ZN2at6native27unrolled_elementwise_kernelIZZZNS0_12_GLOBAL__N_130modified_bessel_k0_kernel_cudaERNS_18TensorIteratorBaseEENKUlvE_clEvENKUlvE0_clEvEUlfE_St5arrayIPcLm2EELi4E23TrivialOffsetCalculatorILi1EjESC_NS0_6memory15LoadWithoutCastENSD_16StoreWithoutCastEEEviT_T0_T2_T3_T4_T5_
	.p2align	8
	.type	_ZN2at6native27unrolled_elementwise_kernelIZZZNS0_12_GLOBAL__N_130modified_bessel_k0_kernel_cudaERNS_18TensorIteratorBaseEENKUlvE_clEvENKUlvE0_clEvEUlfE_St5arrayIPcLm2EELi4E23TrivialOffsetCalculatorILi1EjESC_NS0_6memory15LoadWithoutCastENSD_16StoreWithoutCastEEEviT_T0_T2_T3_T4_T5_,@function
_ZN2at6native27unrolled_elementwise_kernelIZZZNS0_12_GLOBAL__N_130modified_bessel_k0_kernel_cudaERNS_18TensorIteratorBaseEENKUlvE_clEvENKUlvE0_clEvEUlfE_St5arrayIPcLm2EELi4E23TrivialOffsetCalculatorILi1EjESC_NS0_6memory15LoadWithoutCastENSD_16StoreWithoutCastEEEviT_T0_T2_T3_T4_T5_: ; @_ZN2at6native27unrolled_elementwise_kernelIZZZNS0_12_GLOBAL__N_130modified_bessel_k0_kernel_cudaERNS_18TensorIteratorBaseEENKUlvE_clEvENKUlvE0_clEvEUlfE_St5arrayIPcLm2EELi4E23TrivialOffsetCalculatorILi1EjESC_NS0_6memory15LoadWithoutCastENSD_16StoreWithoutCastEEEviT_T0_T2_T3_T4_T5_
; %bb.0:
	s_clause 0x1
	s_load_b32 s6, s[0:1], 0x0
	s_load_b128 s[0:3], s[0:1], 0x8
	s_lshl_b32 s7, s15, 10
	s_getpc_b64 s[4:5]
	s_add_u32 s4, s4, _ZN2at6native25elementwise_kernel_helperILb0EZZZNS0_12_GLOBAL__N_130modified_bessel_k0_kernel_cudaERNS_18TensorIteratorBaseEENKUlvE_clEvENKUlvE0_clEvEUlfE_NS0_6memory8policies11unroll_baseILi256ESt5arrayIPcLm2EE23TrivialOffsetCalculatorILi1EjESF_NS8_15LoadWithoutCastENS8_16StoreWithoutCastELi4ELi1EEEEEvT0_T1_@rel32@lo+4
	s_addc_u32 s5, s5, _ZN2at6native25elementwise_kernel_helperILb0EZZZNS0_12_GLOBAL__N_130modified_bessel_k0_kernel_cudaERNS_18TensorIteratorBaseEENKUlvE_clEvENKUlvE0_clEvEUlfE_NS0_6memory8policies11unroll_baseILi256ESt5arrayIPcLm2EE23TrivialOffsetCalculatorILi1EjESF_NS8_15LoadWithoutCastENS8_16StoreWithoutCastELi4ELi1EEEEEvT0_T1_@rel32@hi+12
	v_mov_b32_e32 v31, v0
	s_mov_b32 s12, s15
	s_mov_b32 s32, 0
	s_waitcnt lgkmcnt(0)
	s_sub_i32 s6, s6, s7
	v_dual_mov_b32 v0, s0 :: v_dual_mov_b32 v1, s1
	v_dual_mov_b32 v2, s2 :: v_dual_mov_b32 v3, s3
	v_mov_b32_e32 v4, s6
	s_swappc_b64 s[30:31], s[4:5]
	s_endpgm
	.section	.rodata,"a",@progbits
	.p2align	6, 0x0
	.amdhsa_kernel _ZN2at6native27unrolled_elementwise_kernelIZZZNS0_12_GLOBAL__N_130modified_bessel_k0_kernel_cudaERNS_18TensorIteratorBaseEENKUlvE_clEvENKUlvE0_clEvEUlfE_St5arrayIPcLm2EELi4E23TrivialOffsetCalculatorILi1EjESC_NS0_6memory15LoadWithoutCastENSD_16StoreWithoutCastEEEviT_T0_T2_T3_T4_T5_
		.amdhsa_group_segment_fixed_size 0
		.amdhsa_private_segment_fixed_size 0
		.amdhsa_kernarg_size 28
		.amdhsa_user_sgpr_count 15
		.amdhsa_user_sgpr_dispatch_ptr 0
		.amdhsa_user_sgpr_queue_ptr 0
		.amdhsa_user_sgpr_kernarg_segment_ptr 1
		.amdhsa_user_sgpr_dispatch_id 0
		.amdhsa_user_sgpr_private_segment_size 0
		.amdhsa_wavefront_size32 1
		.amdhsa_uses_dynamic_stack 0
		.amdhsa_enable_private_segment 0
		.amdhsa_system_sgpr_workgroup_id_x 1
		.amdhsa_system_sgpr_workgroup_id_y 0
		.amdhsa_system_sgpr_workgroup_id_z 0
		.amdhsa_system_sgpr_workgroup_info 0
		.amdhsa_system_vgpr_workitem_id 0
		.amdhsa_next_free_vgpr 35
		.amdhsa_next_free_sgpr 33
		.amdhsa_reserve_vcc 1
		.amdhsa_float_round_mode_32 0
		.amdhsa_float_round_mode_16_64 0
		.amdhsa_float_denorm_mode_32 3
		.amdhsa_float_denorm_mode_16_64 3
		.amdhsa_dx10_clamp 1
		.amdhsa_ieee_mode 1
		.amdhsa_fp16_overflow 0
		.amdhsa_workgroup_processor_mode 1
		.amdhsa_memory_ordered 1
		.amdhsa_forward_progress 0
		.amdhsa_shared_vgpr_count 0
		.amdhsa_exception_fp_ieee_invalid_op 0
		.amdhsa_exception_fp_denorm_src 0
		.amdhsa_exception_fp_ieee_div_zero 0
		.amdhsa_exception_fp_ieee_overflow 0
		.amdhsa_exception_fp_ieee_underflow 0
		.amdhsa_exception_fp_ieee_inexact 0
		.amdhsa_exception_int_div_zero 0
	.end_amdhsa_kernel
	.section	.text._ZN2at6native27unrolled_elementwise_kernelIZZZNS0_12_GLOBAL__N_130modified_bessel_k0_kernel_cudaERNS_18TensorIteratorBaseEENKUlvE_clEvENKUlvE0_clEvEUlfE_St5arrayIPcLm2EELi4E23TrivialOffsetCalculatorILi1EjESC_NS0_6memory15LoadWithoutCastENSD_16StoreWithoutCastEEEviT_T0_T2_T3_T4_T5_,"axG",@progbits,_ZN2at6native27unrolled_elementwise_kernelIZZZNS0_12_GLOBAL__N_130modified_bessel_k0_kernel_cudaERNS_18TensorIteratorBaseEENKUlvE_clEvENKUlvE0_clEvEUlfE_St5arrayIPcLm2EELi4E23TrivialOffsetCalculatorILi1EjESC_NS0_6memory15LoadWithoutCastENSD_16StoreWithoutCastEEEviT_T0_T2_T3_T4_T5_,comdat
.Lfunc_end18:
	.size	_ZN2at6native27unrolled_elementwise_kernelIZZZNS0_12_GLOBAL__N_130modified_bessel_k0_kernel_cudaERNS_18TensorIteratorBaseEENKUlvE_clEvENKUlvE0_clEvEUlfE_St5arrayIPcLm2EELi4E23TrivialOffsetCalculatorILi1EjESC_NS0_6memory15LoadWithoutCastENSD_16StoreWithoutCastEEEviT_T0_T2_T3_T4_T5_, .Lfunc_end18-_ZN2at6native27unrolled_elementwise_kernelIZZZNS0_12_GLOBAL__N_130modified_bessel_k0_kernel_cudaERNS_18TensorIteratorBaseEENKUlvE_clEvENKUlvE0_clEvEUlfE_St5arrayIPcLm2EELi4E23TrivialOffsetCalculatorILi1EjESC_NS0_6memory15LoadWithoutCastENSD_16StoreWithoutCastEEEviT_T0_T2_T3_T4_T5_
                                        ; -- End function
	.section	.AMDGPU.csdata,"",@progbits
; Kernel info:
; codeLenInByte = 92
; NumSgprs: 35
; NumVgprs: 35
; ScratchSize: 0
; MemoryBound: 0
; FloatMode: 240
; IeeeMode: 1
; LDSByteSize: 0 bytes/workgroup (compile time only)
; SGPRBlocks: 4
; VGPRBlocks: 4
; NumSGPRsForWavesPerEU: 35
; NumVGPRsForWavesPerEU: 35
; Occupancy: 16
; WaveLimiterHint : 0
; COMPUTE_PGM_RSRC2:SCRATCH_EN: 0
; COMPUTE_PGM_RSRC2:USER_SGPR: 15
; COMPUTE_PGM_RSRC2:TRAP_HANDLER: 0
; COMPUTE_PGM_RSRC2:TGID_X_EN: 1
; COMPUTE_PGM_RSRC2:TGID_Y_EN: 0
; COMPUTE_PGM_RSRC2:TGID_Z_EN: 0
; COMPUTE_PGM_RSRC2:TIDIG_COMP_CNT: 0
	.section	.text._ZN2at6native32elementwise_kernel_manual_unrollILi128ELi4EZNS0_22gpu_kernel_impl_nocastIZZZNS0_12_GLOBAL__N_130modified_bessel_k0_kernel_cudaERNS_18TensorIteratorBaseEENKUlvE_clEvENKUlvE0_clEvEUlfE_EEvS5_RKT_EUlibE_EEviT1_,"axG",@progbits,_ZN2at6native32elementwise_kernel_manual_unrollILi128ELi4EZNS0_22gpu_kernel_impl_nocastIZZZNS0_12_GLOBAL__N_130modified_bessel_k0_kernel_cudaERNS_18TensorIteratorBaseEENKUlvE_clEvENKUlvE0_clEvEUlfE_EEvS5_RKT_EUlibE_EEviT1_,comdat
	.globl	_ZN2at6native32elementwise_kernel_manual_unrollILi128ELi4EZNS0_22gpu_kernel_impl_nocastIZZZNS0_12_GLOBAL__N_130modified_bessel_k0_kernel_cudaERNS_18TensorIteratorBaseEENKUlvE_clEvENKUlvE0_clEvEUlfE_EEvS5_RKT_EUlibE_EEviT1_ ; -- Begin function _ZN2at6native32elementwise_kernel_manual_unrollILi128ELi4EZNS0_22gpu_kernel_impl_nocastIZZZNS0_12_GLOBAL__N_130modified_bessel_k0_kernel_cudaERNS_18TensorIteratorBaseEENKUlvE_clEvENKUlvE0_clEvEUlfE_EEvS5_RKT_EUlibE_EEviT1_
	.p2align	8
	.type	_ZN2at6native32elementwise_kernel_manual_unrollILi128ELi4EZNS0_22gpu_kernel_impl_nocastIZZZNS0_12_GLOBAL__N_130modified_bessel_k0_kernel_cudaERNS_18TensorIteratorBaseEENKUlvE_clEvENKUlvE0_clEvEUlfE_EEvS5_RKT_EUlibE_EEviT1_,@function
_ZN2at6native32elementwise_kernel_manual_unrollILi128ELi4EZNS0_22gpu_kernel_impl_nocastIZZZNS0_12_GLOBAL__N_130modified_bessel_k0_kernel_cudaERNS_18TensorIteratorBaseEENKUlvE_clEvENKUlvE0_clEvEUlfE_EEvS5_RKT_EUlibE_EEviT1_: ; @_ZN2at6native32elementwise_kernel_manual_unrollILi128ELi4EZNS0_22gpu_kernel_impl_nocastIZZZNS0_12_GLOBAL__N_130modified_bessel_k0_kernel_cudaERNS_18TensorIteratorBaseEENKUlvE_clEvENKUlvE0_clEvEUlfE_EEvS5_RKT_EUlibE_EEviT1_
; %bb.0:
	s_clause 0x1
	s_load_b32 s22, s[0:1], 0x8
	s_load_b32 s27, s[0:1], 0x0
	v_lshl_or_b32 v2, s15, 9, v0
	s_or_b32 s0, s0, 8
	s_mov_b32 s2, exec_lo
	s_delay_alu instid0(VALU_DEP_1) | instskip(SKIP_2) | instid1(SALU_CYCLE_1)
	v_or_b32_e32 v8, 0x180, v2
	s_waitcnt lgkmcnt(0)
	s_add_i32 s23, s22, -1
	s_cmp_gt_u32 s23, 1
	s_cselect_b32 s24, -1, 0
	v_cmpx_le_i32_e64 s27, v8
	s_xor_b32 s25, exec_lo, s2
	s_cbranch_execz .LBB19_7
; %bb.1:
	s_clause 0x3
	s_load_b128 s[12:15], s[0:1], 0x4
	s_load_b64 s[16:17], s[0:1], 0x14
	s_load_b128 s[8:11], s[0:1], 0xc4
	s_load_b128 s[4:7], s[0:1], 0x148
	s_cmp_lg_u32 s22, 0
	s_mov_b32 s30, exec_lo
	s_cselect_b32 s29, -1, 0
	s_add_u32 s18, s0, 0xc4
	s_addc_u32 s19, s1, 0
	s_min_u32 s28, s23, 15
	s_cmp_gt_u32 s22, 1
	s_cselect_b32 s26, -1, 0
	v_cmpx_gt_i32_e64 s27, v2
	s_cbranch_execz .LBB19_14
; %bb.2:
	s_and_not1_b32 vcc_lo, exec_lo, s24
	s_cbranch_vccnz .LBB19_21
; %bb.3:
	v_dual_mov_b32 v0, 0 :: v_dual_mov_b32 v1, 0
	s_and_not1_b32 vcc_lo, exec_lo, s29
	s_mov_b32 s31, 0
	s_cbranch_vccnz .LBB19_121
; %bb.4:
	v_mov_b32_e32 v0, 0
	s_add_i32 s34, s28, 1
	s_cmp_eq_u32 s23, 2
	s_mov_b32 s33, 0
	s_cbranch_scc1 .LBB19_117
; %bb.5:
	v_dual_mov_b32 v1, 0 :: v_dual_mov_b32 v0, 0
	v_mov_b32_e32 v3, v2
	s_and_b32 s33, s34, 28
	s_mov_b32 s35, 0
	s_mov_b64 s[2:3], s[18:19]
	s_mov_b64 s[20:21], s[0:1]
.LBB19_6:                               ; =>This Inner Loop Header: Depth=1
	s_clause 0x1
	s_load_b256 s[36:43], s[20:21], 0x4
	s_load_b128 s[52:55], s[20:21], 0x24
	s_load_b256 s[44:51], s[2:3], 0x0
	s_add_u32 s20, s20, 48
	s_addc_u32 s21, s21, 0
	s_add_i32 s35, s35, 4
	s_add_u32 s2, s2, 32
	s_addc_u32 s3, s3, 0
	s_cmp_lg_u32 s33, s35
	s_waitcnt lgkmcnt(0)
	v_mul_hi_u32 v4, s37, v3
	s_delay_alu instid0(VALU_DEP_1) | instskip(NEXT) | instid1(VALU_DEP_1)
	v_add_nc_u32_e32 v4, v3, v4
	v_lshrrev_b32_e32 v4, s38, v4
	s_delay_alu instid0(VALU_DEP_1) | instskip(SKIP_1) | instid1(VALU_DEP_2)
	v_mul_hi_u32 v5, s40, v4
	v_mul_lo_u32 v7, v4, s36
	v_add_nc_u32_e32 v5, v4, v5
	s_delay_alu instid0(VALU_DEP_2) | instskip(NEXT) | instid1(VALU_DEP_2)
	v_sub_nc_u32_e32 v3, v3, v7
	v_lshrrev_b32_e32 v5, s41, v5
	s_delay_alu instid0(VALU_DEP_2) | instskip(SKIP_1) | instid1(VALU_DEP_3)
	v_mul_lo_u32 v7, v3, s44
	v_mul_lo_u32 v9, v3, s45
	v_mul_hi_u32 v6, s43, v5
	s_delay_alu instid0(VALU_DEP_1) | instskip(NEXT) | instid1(VALU_DEP_1)
	v_add_nc_u32_e32 v6, v5, v6
	v_lshrrev_b32_e32 v6, s52, v6
	s_delay_alu instid0(VALU_DEP_1) | instskip(SKIP_1) | instid1(VALU_DEP_2)
	v_mul_hi_u32 v8, s54, v6
	v_mul_lo_u32 v10, v6, s42
	v_add_nc_u32_e32 v3, v6, v8
	v_mul_lo_u32 v8, v5, s39
	s_delay_alu instid0(VALU_DEP_3) | instskip(NEXT) | instid1(VALU_DEP_3)
	v_sub_nc_u32_e32 v5, v5, v10
	v_lshrrev_b32_e32 v3, s55, v3
	s_delay_alu instid0(VALU_DEP_2) | instskip(SKIP_2) | instid1(VALU_DEP_4)
	v_mul_lo_u32 v10, v5, s48
	v_mul_lo_u32 v5, v5, s49
	v_sub_nc_u32_e32 v4, v4, v8
	v_mul_lo_u32 v11, v3, s53
	s_delay_alu instid0(VALU_DEP_2) | instskip(SKIP_1) | instid1(VALU_DEP_3)
	v_mul_lo_u32 v8, v4, s46
	v_mul_lo_u32 v4, v4, s47
	v_sub_nc_u32_e32 v6, v6, v11
	s_delay_alu instid0(VALU_DEP_3) | instskip(NEXT) | instid1(VALU_DEP_2)
	v_add3_u32 v0, v7, v0, v8
	v_mul_lo_u32 v11, v6, s50
	v_mul_lo_u32 v6, v6, s51
	v_add3_u32 v1, v9, v1, v4
	s_delay_alu instid0(VALU_DEP_3) | instskip(NEXT) | instid1(VALU_DEP_2)
	v_add3_u32 v0, v10, v0, v11
	v_add3_u32 v1, v5, v1, v6
	s_cbranch_scc1 .LBB19_6
	s_branch .LBB19_118
.LBB19_7:
	s_and_not1_saveexec_b32 s2, s25
	s_cbranch_execz .LBB19_166
.LBB19_8:
	v_cndmask_b32_e64 v3, 0, 1, s24
	s_and_not1_b32 vcc_lo, exec_lo, s24
	s_cbranch_vccnz .LBB19_20
; %bb.9:
	v_dual_mov_b32 v0, 0 :: v_dual_mov_b32 v7, 0
	s_cmp_lg_u32 s22, 0
	s_waitcnt lgkmcnt(0)
	s_mov_b32 s6, 0
	s_cbranch_scc0 .LBB19_26
; %bb.10:
	s_min_u32 s7, s23, 15
	v_mov_b32_e32 v0, 0
	s_add_i32 s7, s7, 1
	s_cmp_eq_u32 s23, 2
	s_mov_b32 s8, 0
	s_cbranch_scc1 .LBB19_23
; %bb.11:
	v_dual_mov_b32 v7, 0 :: v_dual_mov_b32 v0, 0
	v_mov_b32_e32 v1, v2
	s_add_u32 s2, s0, 0xc4
	s_addc_u32 s3, s1, 0
	s_and_b32 s8, s7, 28
	s_mov_b32 s9, 0
	s_mov_b64 s[4:5], s[0:1]
.LBB19_12:                              ; =>This Inner Loop Header: Depth=1
	s_clause 0x1
	s_load_b256 s[12:19], s[4:5], 0x4
	s_load_b128 s[36:39], s[4:5], 0x24
	s_load_b256 s[24:31], s[2:3], 0x0
	s_add_u32 s4, s4, 48
	s_addc_u32 s5, s5, 0
	s_add_i32 s9, s9, 4
	s_add_u32 s2, s2, 32
	s_addc_u32 s3, s3, 0
	s_cmp_lg_u32 s8, s9
	s_waitcnt lgkmcnt(0)
	v_mul_hi_u32 v4, s13, v1
	s_delay_alu instid0(VALU_DEP_1) | instskip(NEXT) | instid1(VALU_DEP_1)
	v_add_nc_u32_e32 v4, v1, v4
	v_lshrrev_b32_e32 v4, s14, v4
	s_delay_alu instid0(VALU_DEP_1) | instskip(SKIP_1) | instid1(VALU_DEP_2)
	v_mul_hi_u32 v5, s16, v4
	v_mul_lo_u32 v9, v4, s12
	v_add_nc_u32_e32 v5, v4, v5
	s_delay_alu instid0(VALU_DEP_2) | instskip(NEXT) | instid1(VALU_DEP_2)
	v_sub_nc_u32_e32 v1, v1, v9
	v_lshrrev_b32_e32 v5, s17, v5
	s_delay_alu instid0(VALU_DEP_2) | instskip(SKIP_1) | instid1(VALU_DEP_3)
	v_mul_lo_u32 v9, v1, s24
	v_mul_lo_u32 v11, v1, s25
	v_mul_hi_u32 v6, s19, v5
	s_delay_alu instid0(VALU_DEP_1) | instskip(NEXT) | instid1(VALU_DEP_1)
	v_add_nc_u32_e32 v6, v5, v6
	v_lshrrev_b32_e32 v6, s36, v6
	s_delay_alu instid0(VALU_DEP_1) | instskip(SKIP_1) | instid1(VALU_DEP_2)
	v_mul_hi_u32 v10, s38, v6
	v_mul_lo_u32 v12, v6, s18
	v_add_nc_u32_e32 v1, v6, v10
	v_mul_lo_u32 v10, v5, s15
	s_delay_alu instid0(VALU_DEP_3) | instskip(NEXT) | instid1(VALU_DEP_3)
	v_sub_nc_u32_e32 v5, v5, v12
	v_lshrrev_b32_e32 v1, s39, v1
	s_delay_alu instid0(VALU_DEP_2) | instskip(SKIP_2) | instid1(VALU_DEP_4)
	v_mul_lo_u32 v12, v5, s28
	v_mul_lo_u32 v5, v5, s29
	v_sub_nc_u32_e32 v4, v4, v10
	v_mul_lo_u32 v13, v1, s37
	s_delay_alu instid0(VALU_DEP_2) | instskip(SKIP_1) | instid1(VALU_DEP_3)
	v_mul_lo_u32 v10, v4, s26
	v_mul_lo_u32 v4, v4, s27
	v_sub_nc_u32_e32 v6, v6, v13
	s_delay_alu instid0(VALU_DEP_3) | instskip(NEXT) | instid1(VALU_DEP_2)
	v_add3_u32 v0, v9, v0, v10
	v_mul_lo_u32 v13, v6, s30
	v_mul_lo_u32 v6, v6, s31
	v_add3_u32 v4, v11, v7, v4
	s_delay_alu instid0(VALU_DEP_3) | instskip(NEXT) | instid1(VALU_DEP_2)
	v_add3_u32 v0, v12, v0, v13
	v_add3_u32 v7, v5, v4, v6
	s_cbranch_scc1 .LBB19_12
; %bb.13:
	s_and_b32 s7, s7, 3
	s_delay_alu instid0(SALU_CYCLE_1)
	s_cmp_eq_u32 s7, 0
	s_cbranch_scc0 .LBB19_24
	s_branch .LBB19_26
.LBB19_14:
	s_or_b32 exec_lo, exec_lo, s30
	s_delay_alu instid0(SALU_CYCLE_1)
	s_mov_b32 s30, exec_lo
	v_cmpx_gt_i32_e64 s27, v2
	s_cbranch_execz .LBB19_137
.LBB19_15:
	s_and_not1_b32 vcc_lo, exec_lo, s24
	s_cbranch_vccnz .LBB19_22
; %bb.16:
	v_dual_mov_b32 v0, 0 :: v_dual_mov_b32 v1, 0
	s_and_not1_b32 vcc_lo, exec_lo, s29
	s_mov_b32 s31, 0
	s_cbranch_vccnz .LBB19_148
; %bb.17:
	v_mov_b32_e32 v0, 0
	s_add_i32 s34, s28, 1
	s_cmp_eq_u32 s23, 2
	s_mov_b32 s33, 0
	s_cbranch_scc1 .LBB19_144
; %bb.18:
	v_dual_mov_b32 v1, 0 :: v_dual_mov_b32 v0, 0
	v_mov_b32_e32 v3, v2
	s_and_b32 s33, s34, 28
	s_mov_b32 s35, 0
	s_mov_b64 s[2:3], s[18:19]
	s_mov_b64 s[20:21], s[0:1]
.LBB19_19:                              ; =>This Inner Loop Header: Depth=1
	s_clause 0x1
	s_load_b256 s[36:43], s[20:21], 0x4
	s_load_b128 s[52:55], s[20:21], 0x24
	s_load_b256 s[44:51], s[2:3], 0x0
	s_add_u32 s20, s20, 48
	s_addc_u32 s21, s21, 0
	s_add_i32 s35, s35, 4
	s_add_u32 s2, s2, 32
	s_addc_u32 s3, s3, 0
	s_cmp_eq_u32 s33, s35
	s_waitcnt lgkmcnt(0)
	v_mul_hi_u32 v4, s37, v3
	s_delay_alu instid0(VALU_DEP_1) | instskip(NEXT) | instid1(VALU_DEP_1)
	v_add_nc_u32_e32 v4, v3, v4
	v_lshrrev_b32_e32 v4, s38, v4
	s_delay_alu instid0(VALU_DEP_1) | instskip(SKIP_1) | instid1(VALU_DEP_2)
	v_mul_hi_u32 v5, s40, v4
	v_mul_lo_u32 v7, v4, s36
	v_add_nc_u32_e32 v5, v4, v5
	s_delay_alu instid0(VALU_DEP_2) | instskip(NEXT) | instid1(VALU_DEP_2)
	v_sub_nc_u32_e32 v3, v3, v7
	v_lshrrev_b32_e32 v5, s41, v5
	s_delay_alu instid0(VALU_DEP_2) | instskip(SKIP_1) | instid1(VALU_DEP_3)
	v_mul_lo_u32 v7, v3, s44
	v_mul_lo_u32 v9, v3, s45
	v_mul_hi_u32 v6, s43, v5
	s_delay_alu instid0(VALU_DEP_1) | instskip(NEXT) | instid1(VALU_DEP_1)
	v_add_nc_u32_e32 v6, v5, v6
	v_lshrrev_b32_e32 v6, s52, v6
	s_delay_alu instid0(VALU_DEP_1) | instskip(SKIP_1) | instid1(VALU_DEP_2)
	v_mul_hi_u32 v8, s54, v6
	v_mul_lo_u32 v10, v6, s42
	v_add_nc_u32_e32 v3, v6, v8
	v_mul_lo_u32 v8, v5, s39
	s_delay_alu instid0(VALU_DEP_3) | instskip(NEXT) | instid1(VALU_DEP_3)
	v_sub_nc_u32_e32 v5, v5, v10
	v_lshrrev_b32_e32 v3, s55, v3
	s_delay_alu instid0(VALU_DEP_2) | instskip(SKIP_2) | instid1(VALU_DEP_4)
	v_mul_lo_u32 v10, v5, s48
	v_mul_lo_u32 v5, v5, s49
	v_sub_nc_u32_e32 v4, v4, v8
	v_mul_lo_u32 v11, v3, s53
	s_delay_alu instid0(VALU_DEP_2) | instskip(SKIP_1) | instid1(VALU_DEP_3)
	v_mul_lo_u32 v8, v4, s46
	v_mul_lo_u32 v4, v4, s47
	v_sub_nc_u32_e32 v6, v6, v11
	s_delay_alu instid0(VALU_DEP_3) | instskip(NEXT) | instid1(VALU_DEP_2)
	v_add3_u32 v0, v7, v0, v8
	v_mul_lo_u32 v11, v6, s50
	v_mul_lo_u32 v6, v6, s51
	v_add3_u32 v1, v9, v1, v4
	s_delay_alu instid0(VALU_DEP_3) | instskip(NEXT) | instid1(VALU_DEP_2)
	v_add3_u32 v0, v10, v0, v11
	v_add3_u32 v1, v5, v1, v6
	s_cbranch_scc0 .LBB19_19
	s_branch .LBB19_145
.LBB19_20:
	s_waitcnt lgkmcnt(0)
	s_mov_b32 s6, -1
                                        ; implicit-def: $vgpr0
                                        ; implicit-def: $vgpr7
	s_branch .LBB19_26
.LBB19_21:
	s_mov_b32 s31, -1
                                        ; implicit-def: $vgpr0
                                        ; implicit-def: $vgpr1
	s_branch .LBB19_121
.LBB19_22:
	s_mov_b32 s31, -1
                                        ; implicit-def: $vgpr0
                                        ; implicit-def: $vgpr1
	s_branch .LBB19_148
.LBB19_23:
	v_mov_b32_e32 v1, v2
	v_mov_b32_e32 v7, 0
	s_and_b32 s7, s7, 3
	s_delay_alu instid0(SALU_CYCLE_1)
	s_cmp_eq_u32 s7, 0
	s_cbranch_scc1 .LBB19_26
.LBB19_24:
	s_lshl_b32 s2, s8, 3
	s_mul_i32 s4, s8, 12
	s_add_u32 s2, s2, s0
	s_addc_u32 s3, 0, s1
	s_add_u32 s2, s2, 0xc4
	s_addc_u32 s3, s3, 0
	;; [unrolled: 2-line block ×3, first 2 shown]
	.p2align	6
.LBB19_25:                              ; =>This Inner Loop Header: Depth=1
	s_clause 0x1
	s_load_b64 s[8:9], s[4:5], 0x4
	s_load_b32 s12, s[4:5], 0xc
	s_load_b64 s[10:11], s[2:3], 0x0
	s_add_u32 s4, s4, 12
	s_addc_u32 s5, s5, 0
	s_add_u32 s2, s2, 8
	s_addc_u32 s3, s3, 0
	s_add_i32 s7, s7, -1
	s_delay_alu instid0(SALU_CYCLE_1) | instskip(SKIP_2) | instid1(VALU_DEP_1)
	s_cmp_lg_u32 s7, 0
	s_waitcnt lgkmcnt(0)
	v_mul_hi_u32 v4, s9, v1
	v_add_nc_u32_e32 v4, v1, v4
	s_delay_alu instid0(VALU_DEP_1) | instskip(NEXT) | instid1(VALU_DEP_1)
	v_lshrrev_b32_e32 v9, s12, v4
	v_mul_lo_u32 v4, v9, s8
	s_delay_alu instid0(VALU_DEP_1) | instskip(NEXT) | instid1(VALU_DEP_1)
	v_sub_nc_u32_e32 v1, v1, v4
	v_mad_u64_u32 v[4:5], null, v1, s10, v[0:1]
	v_mad_u64_u32 v[5:6], null, v1, s11, v[7:8]
	s_delay_alu instid0(VALU_DEP_2) | instskip(NEXT) | instid1(VALU_DEP_2)
	v_dual_mov_b32 v1, v9 :: v_dual_mov_b32 v0, v4
	v_mov_b32_e32 v7, v5
	s_cbranch_scc1 .LBB19_25
.LBB19_26:
	s_and_not1_b32 vcc_lo, exec_lo, s6
	s_cbranch_vccnz .LBB19_29
; %bb.27:
	s_clause 0x1
	s_load_b128 s[4:7], s[0:1], 0x4
	s_load_b64 s[2:3], s[0:1], 0xc4
	s_cmp_lt_u32 s22, 2
	s_waitcnt lgkmcnt(0)
	v_mul_hi_u32 v0, s5, v2
	s_delay_alu instid0(VALU_DEP_1) | instskip(NEXT) | instid1(VALU_DEP_1)
	v_add_nc_u32_e32 v0, v2, v0
	v_lshrrev_b32_e32 v1, s6, v0
	s_delay_alu instid0(VALU_DEP_1) | instskip(NEXT) | instid1(VALU_DEP_1)
	v_mul_lo_u32 v0, v1, s4
	v_sub_nc_u32_e32 v4, v2, v0
	s_delay_alu instid0(VALU_DEP_1)
	v_mul_lo_u32 v0, v4, s2
	v_mul_lo_u32 v7, v4, s3
	s_cbranch_scc1 .LBB19_29
; %bb.28:
	s_clause 0x1
	s_load_b128 s[4:7], s[0:1], 0x10
	s_load_b64 s[2:3], s[0:1], 0xcc
	s_waitcnt lgkmcnt(0)
	v_mul_hi_u32 v4, s5, v1
	s_delay_alu instid0(VALU_DEP_1) | instskip(NEXT) | instid1(VALU_DEP_1)
	v_add_nc_u32_e32 v4, v1, v4
	v_lshrrev_b32_e32 v4, s6, v4
	s_delay_alu instid0(VALU_DEP_1) | instskip(NEXT) | instid1(VALU_DEP_1)
	v_mul_lo_u32 v4, v4, s4
	v_sub_nc_u32_e32 v1, v1, v4
	s_delay_alu instid0(VALU_DEP_1) | instskip(SKIP_1) | instid1(VALU_DEP_1)
	v_mad_u64_u32 v[4:5], null, v1, s2, v[0:1]
	v_mad_u64_u32 v[5:6], null, v1, s3, v[7:8]
	v_dual_mov_b32 v0, v4 :: v_dual_mov_b32 v7, v5
.LBB19_29:
	v_cmp_ne_u32_e32 vcc_lo, 1, v3
	v_add_nc_u32_e32 v4, 0x80, v2
	s_cbranch_vccnz .LBB19_35
; %bb.30:
	v_dual_mov_b32 v1, 0 :: v_dual_mov_b32 v6, 0
	s_cmp_lg_u32 s22, 0
	s_mov_b32 s6, 0
	s_cbranch_scc0 .LBB19_39
; %bb.31:
	s_min_u32 s7, s23, 15
	v_mov_b32_e32 v1, 0
	s_add_i32 s7, s7, 1
	s_cmp_eq_u32 s23, 2
	s_mov_b32 s8, 0
	s_cbranch_scc1 .LBB19_36
; %bb.32:
	v_dual_mov_b32 v6, 0 :: v_dual_mov_b32 v1, 0
	v_mov_b32_e32 v5, v4
	s_add_u32 s2, s0, 0xc4
	s_addc_u32 s3, s1, 0
	s_and_b32 s8, s7, 28
	s_mov_b32 s9, 0
	s_mov_b64 s[4:5], s[0:1]
.LBB19_33:                              ; =>This Inner Loop Header: Depth=1
	s_clause 0x1
	s_load_b256 s[12:19], s[4:5], 0x4
	s_load_b128 s[36:39], s[4:5], 0x24
	s_load_b256 s[24:31], s[2:3], 0x0
	s_add_u32 s4, s4, 48
	s_addc_u32 s5, s5, 0
	s_add_i32 s9, s9, 4
	s_add_u32 s2, s2, 32
	s_addc_u32 s3, s3, 0
	s_cmp_lg_u32 s8, s9
	s_waitcnt lgkmcnt(0)
	v_mul_hi_u32 v9, s13, v5
	s_delay_alu instid0(VALU_DEP_1) | instskip(NEXT) | instid1(VALU_DEP_1)
	v_add_nc_u32_e32 v9, v5, v9
	v_lshrrev_b32_e32 v9, s14, v9
	s_delay_alu instid0(VALU_DEP_1) | instskip(SKIP_1) | instid1(VALU_DEP_2)
	v_mul_hi_u32 v10, s16, v9
	v_mul_lo_u32 v12, v9, s12
	v_add_nc_u32_e32 v10, v9, v10
	s_delay_alu instid0(VALU_DEP_2) | instskip(NEXT) | instid1(VALU_DEP_2)
	v_sub_nc_u32_e32 v5, v5, v12
	v_lshrrev_b32_e32 v10, s17, v10
	s_delay_alu instid0(VALU_DEP_2) | instskip(SKIP_1) | instid1(VALU_DEP_3)
	v_mul_lo_u32 v12, v5, s24
	v_mul_lo_u32 v14, v5, s25
	v_mul_hi_u32 v11, s19, v10
	s_delay_alu instid0(VALU_DEP_1) | instskip(NEXT) | instid1(VALU_DEP_1)
	v_add_nc_u32_e32 v11, v10, v11
	v_lshrrev_b32_e32 v11, s36, v11
	s_delay_alu instid0(VALU_DEP_1) | instskip(SKIP_1) | instid1(VALU_DEP_2)
	v_mul_hi_u32 v13, s38, v11
	v_mul_lo_u32 v15, v11, s18
	v_add_nc_u32_e32 v5, v11, v13
	v_mul_lo_u32 v13, v10, s15
	s_delay_alu instid0(VALU_DEP_3) | instskip(NEXT) | instid1(VALU_DEP_3)
	v_sub_nc_u32_e32 v10, v10, v15
	v_lshrrev_b32_e32 v5, s39, v5
	s_delay_alu instid0(VALU_DEP_2) | instskip(SKIP_2) | instid1(VALU_DEP_4)
	v_mul_lo_u32 v15, v10, s28
	v_mul_lo_u32 v10, v10, s29
	v_sub_nc_u32_e32 v9, v9, v13
	v_mul_lo_u32 v16, v5, s37
	s_delay_alu instid0(VALU_DEP_2) | instskip(SKIP_1) | instid1(VALU_DEP_3)
	v_mul_lo_u32 v13, v9, s26
	v_mul_lo_u32 v9, v9, s27
	v_sub_nc_u32_e32 v11, v11, v16
	s_delay_alu instid0(VALU_DEP_3) | instskip(NEXT) | instid1(VALU_DEP_2)
	v_add3_u32 v1, v12, v1, v13
	v_mul_lo_u32 v16, v11, s30
	v_mul_lo_u32 v11, v11, s31
	v_add3_u32 v6, v14, v6, v9
	s_delay_alu instid0(VALU_DEP_3) | instskip(NEXT) | instid1(VALU_DEP_2)
	v_add3_u32 v1, v15, v1, v16
	v_add3_u32 v6, v10, v6, v11
	s_cbranch_scc1 .LBB19_33
; %bb.34:
	s_and_b32 s7, s7, 3
	s_delay_alu instid0(SALU_CYCLE_1)
	s_cmp_eq_u32 s7, 0
	s_cbranch_scc0 .LBB19_37
	s_branch .LBB19_39
.LBB19_35:
	s_mov_b32 s6, -1
                                        ; implicit-def: $vgpr1
                                        ; implicit-def: $vgpr6
	s_branch .LBB19_39
.LBB19_36:
	v_dual_mov_b32 v5, v4 :: v_dual_mov_b32 v6, 0
	s_and_b32 s7, s7, 3
	s_delay_alu instid0(SALU_CYCLE_1)
	s_cmp_eq_u32 s7, 0
	s_cbranch_scc1 .LBB19_39
.LBB19_37:
	s_lshl_b32 s2, s8, 3
	s_mul_i32 s4, s8, 12
	s_add_u32 s2, s2, s0
	s_addc_u32 s3, 0, s1
	s_add_u32 s2, s2, 0xc4
	s_addc_u32 s3, s3, 0
	;; [unrolled: 2-line block ×3, first 2 shown]
	.p2align	6
.LBB19_38:                              ; =>This Inner Loop Header: Depth=1
	s_clause 0x1
	s_load_b64 s[8:9], s[4:5], 0x4
	s_load_b32 s12, s[4:5], 0xc
	s_load_b64 s[10:11], s[2:3], 0x0
	s_add_u32 s4, s4, 12
	s_addc_u32 s5, s5, 0
	s_add_u32 s2, s2, 8
	s_addc_u32 s3, s3, 0
	s_add_i32 s7, s7, -1
	s_delay_alu instid0(SALU_CYCLE_1) | instskip(SKIP_2) | instid1(VALU_DEP_1)
	s_cmp_lg_u32 s7, 0
	s_waitcnt lgkmcnt(0)
	v_mul_hi_u32 v9, s9, v5
	v_add_nc_u32_e32 v9, v5, v9
	s_delay_alu instid0(VALU_DEP_1) | instskip(NEXT) | instid1(VALU_DEP_1)
	v_lshrrev_b32_e32 v12, s12, v9
	v_mul_lo_u32 v9, v12, s8
	s_delay_alu instid0(VALU_DEP_1) | instskip(NEXT) | instid1(VALU_DEP_1)
	v_sub_nc_u32_e32 v5, v5, v9
	v_mad_u64_u32 v[9:10], null, v5, s10, v[1:2]
	v_mad_u64_u32 v[10:11], null, v5, s11, v[6:7]
	v_mov_b32_e32 v5, v12
	s_delay_alu instid0(VALU_DEP_2)
	v_dual_mov_b32 v1, v9 :: v_dual_mov_b32 v6, v10
	s_cbranch_scc1 .LBB19_38
.LBB19_39:
	s_and_not1_b32 vcc_lo, exec_lo, s6
	s_cbranch_vccnz .LBB19_42
; %bb.40:
	s_clause 0x1
	s_load_b128 s[4:7], s[0:1], 0x4
	s_load_b64 s[2:3], s[0:1], 0xc4
	s_cmp_lt_u32 s22, 2
	s_waitcnt lgkmcnt(0)
	v_mul_hi_u32 v1, s5, v4
	s_delay_alu instid0(VALU_DEP_1) | instskip(NEXT) | instid1(VALU_DEP_1)
	v_add_nc_u32_e32 v1, v4, v1
	v_lshrrev_b32_e32 v5, s6, v1
	s_delay_alu instid0(VALU_DEP_1) | instskip(NEXT) | instid1(VALU_DEP_1)
	v_mul_lo_u32 v1, v5, s4
	v_sub_nc_u32_e32 v4, v4, v1
	s_delay_alu instid0(VALU_DEP_1)
	v_mul_lo_u32 v1, v4, s2
	v_mul_lo_u32 v6, v4, s3
	s_cbranch_scc1 .LBB19_42
; %bb.41:
	s_clause 0x1
	s_load_b128 s[4:7], s[0:1], 0x10
	s_load_b64 s[2:3], s[0:1], 0xcc
	s_waitcnt lgkmcnt(0)
	v_mul_hi_u32 v4, s5, v5
	s_delay_alu instid0(VALU_DEP_1) | instskip(NEXT) | instid1(VALU_DEP_1)
	v_add_nc_u32_e32 v4, v5, v4
	v_lshrrev_b32_e32 v4, s6, v4
	s_delay_alu instid0(VALU_DEP_1) | instskip(NEXT) | instid1(VALU_DEP_1)
	v_mul_lo_u32 v4, v4, s4
	v_sub_nc_u32_e32 v11, v5, v4
	s_delay_alu instid0(VALU_DEP_1) | instskip(SKIP_1) | instid1(VALU_DEP_1)
	v_mad_u64_u32 v[4:5], null, v11, s2, v[1:2]
	v_mad_u64_u32 v[9:10], null, v11, s3, v[6:7]
	v_dual_mov_b32 v1, v4 :: v_dual_mov_b32 v6, v9
.LBB19_42:
	v_cmp_ne_u32_e32 vcc_lo, 1, v3
	v_add_nc_u32_e32 v4, 0x100, v2
	s_cbranch_vccnz .LBB19_48
; %bb.43:
	v_dual_mov_b32 v2, 0 :: v_dual_mov_b32 v5, 0
	s_cmp_lg_u32 s22, 0
	s_mov_b32 s6, 0
	s_cbranch_scc0 .LBB19_52
; %bb.44:
	s_min_u32 s7, s23, 15
	v_mov_b32_e32 v2, 0
	s_add_i32 s7, s7, 1
	s_cmp_eq_u32 s23, 2
	s_mov_b32 s8, 0
	s_cbranch_scc1 .LBB19_49
; %bb.45:
	v_dual_mov_b32 v5, 0 :: v_dual_mov_b32 v2, 0
	v_mov_b32_e32 v9, v4
	s_add_u32 s2, s0, 0xc4
	s_addc_u32 s3, s1, 0
	s_and_b32 s8, s7, 28
	s_mov_b32 s9, 0
	s_mov_b64 s[4:5], s[0:1]
.LBB19_46:                              ; =>This Inner Loop Header: Depth=1
	s_clause 0x1
	s_load_b256 s[12:19], s[4:5], 0x4
	s_load_b128 s[36:39], s[4:5], 0x24
	s_load_b256 s[24:31], s[2:3], 0x0
	s_add_u32 s4, s4, 48
	s_addc_u32 s5, s5, 0
	s_add_i32 s9, s9, 4
	s_add_u32 s2, s2, 32
	s_addc_u32 s3, s3, 0
	s_cmp_lg_u32 s8, s9
	s_waitcnt lgkmcnt(0)
	v_mul_hi_u32 v10, s13, v9
	s_delay_alu instid0(VALU_DEP_1) | instskip(NEXT) | instid1(VALU_DEP_1)
	v_add_nc_u32_e32 v10, v9, v10
	v_lshrrev_b32_e32 v10, s14, v10
	s_delay_alu instid0(VALU_DEP_1) | instskip(SKIP_1) | instid1(VALU_DEP_2)
	v_mul_hi_u32 v11, s16, v10
	v_mul_lo_u32 v13, v10, s12
	v_add_nc_u32_e32 v11, v10, v11
	s_delay_alu instid0(VALU_DEP_2) | instskip(NEXT) | instid1(VALU_DEP_2)
	v_sub_nc_u32_e32 v9, v9, v13
	v_lshrrev_b32_e32 v11, s17, v11
	s_delay_alu instid0(VALU_DEP_2) | instskip(SKIP_1) | instid1(VALU_DEP_3)
	v_mul_lo_u32 v13, v9, s24
	v_mul_lo_u32 v15, v9, s25
	v_mul_hi_u32 v12, s19, v11
	s_delay_alu instid0(VALU_DEP_1) | instskip(NEXT) | instid1(VALU_DEP_1)
	v_add_nc_u32_e32 v12, v11, v12
	v_lshrrev_b32_e32 v12, s36, v12
	s_delay_alu instid0(VALU_DEP_1) | instskip(SKIP_1) | instid1(VALU_DEP_2)
	v_mul_hi_u32 v14, s38, v12
	v_mul_lo_u32 v16, v12, s18
	v_add_nc_u32_e32 v9, v12, v14
	v_mul_lo_u32 v14, v11, s15
	s_delay_alu instid0(VALU_DEP_3) | instskip(NEXT) | instid1(VALU_DEP_3)
	v_sub_nc_u32_e32 v11, v11, v16
	v_lshrrev_b32_e32 v9, s39, v9
	s_delay_alu instid0(VALU_DEP_2) | instskip(SKIP_2) | instid1(VALU_DEP_4)
	v_mul_lo_u32 v16, v11, s28
	v_mul_lo_u32 v11, v11, s29
	v_sub_nc_u32_e32 v10, v10, v14
	v_mul_lo_u32 v17, v9, s37
	s_delay_alu instid0(VALU_DEP_2) | instskip(SKIP_1) | instid1(VALU_DEP_3)
	v_mul_lo_u32 v14, v10, s26
	v_mul_lo_u32 v10, v10, s27
	v_sub_nc_u32_e32 v12, v12, v17
	s_delay_alu instid0(VALU_DEP_3) | instskip(NEXT) | instid1(VALU_DEP_2)
	v_add3_u32 v2, v13, v2, v14
	v_mul_lo_u32 v17, v12, s30
	v_mul_lo_u32 v12, v12, s31
	v_add3_u32 v5, v15, v5, v10
	s_delay_alu instid0(VALU_DEP_3) | instskip(NEXT) | instid1(VALU_DEP_2)
	v_add3_u32 v2, v16, v2, v17
	v_add3_u32 v5, v11, v5, v12
	s_cbranch_scc1 .LBB19_46
; %bb.47:
	s_and_b32 s7, s7, 3
	s_delay_alu instid0(SALU_CYCLE_1)
	s_cmp_eq_u32 s7, 0
	s_cbranch_scc0 .LBB19_50
	s_branch .LBB19_52
.LBB19_48:
	s_mov_b32 s6, -1
                                        ; implicit-def: $vgpr2
                                        ; implicit-def: $vgpr5
	s_branch .LBB19_52
.LBB19_49:
	v_mov_b32_e32 v9, v4
	v_mov_b32_e32 v5, 0
	s_and_b32 s7, s7, 3
	s_delay_alu instid0(SALU_CYCLE_1)
	s_cmp_eq_u32 s7, 0
	s_cbranch_scc1 .LBB19_52
.LBB19_50:
	s_lshl_b32 s2, s8, 3
	s_mul_i32 s4, s8, 12
	s_add_u32 s2, s2, s0
	s_addc_u32 s3, 0, s1
	s_add_u32 s2, s2, 0xc4
	s_addc_u32 s3, s3, 0
	s_add_u32 s4, s0, s4
	s_addc_u32 s5, 0, s1
	.p2align	6
.LBB19_51:                              ; =>This Inner Loop Header: Depth=1
	s_clause 0x1
	s_load_b64 s[8:9], s[4:5], 0x4
	s_load_b32 s12, s[4:5], 0xc
	s_load_b64 s[10:11], s[2:3], 0x0
	s_add_u32 s4, s4, 12
	s_addc_u32 s5, s5, 0
	s_add_u32 s2, s2, 8
	s_addc_u32 s3, s3, 0
	s_add_i32 s7, s7, -1
	s_delay_alu instid0(SALU_CYCLE_1) | instskip(SKIP_2) | instid1(VALU_DEP_1)
	s_cmp_lg_u32 s7, 0
	s_waitcnt lgkmcnt(0)
	v_mul_hi_u32 v10, s9, v9
	v_add_nc_u32_e32 v10, v9, v10
	s_delay_alu instid0(VALU_DEP_1) | instskip(NEXT) | instid1(VALU_DEP_1)
	v_lshrrev_b32_e32 v13, s12, v10
	v_mul_lo_u32 v10, v13, s8
	s_delay_alu instid0(VALU_DEP_1) | instskip(NEXT) | instid1(VALU_DEP_1)
	v_sub_nc_u32_e32 v9, v9, v10
	v_mad_u64_u32 v[10:11], null, v9, s10, v[2:3]
	v_mad_u64_u32 v[11:12], null, v9, s11, v[5:6]
	s_delay_alu instid0(VALU_DEP_2) | instskip(NEXT) | instid1(VALU_DEP_2)
	v_dual_mov_b32 v9, v13 :: v_dual_mov_b32 v2, v10
	v_mov_b32_e32 v5, v11
	s_cbranch_scc1 .LBB19_51
.LBB19_52:
	s_and_not1_b32 vcc_lo, exec_lo, s6
	s_cbranch_vccnz .LBB19_55
; %bb.53:
	s_clause 0x1
	s_load_b128 s[4:7], s[0:1], 0x4
	s_load_b64 s[2:3], s[0:1], 0xc4
	s_cmp_lt_u32 s22, 2
	s_waitcnt lgkmcnt(0)
	v_mul_hi_u32 v2, s5, v4
	s_delay_alu instid0(VALU_DEP_1) | instskip(NEXT) | instid1(VALU_DEP_1)
	v_add_nc_u32_e32 v2, v4, v2
	v_lshrrev_b32_e32 v9, s6, v2
	s_delay_alu instid0(VALU_DEP_1) | instskip(NEXT) | instid1(VALU_DEP_1)
	v_mul_lo_u32 v2, v9, s4
	v_sub_nc_u32_e32 v4, v4, v2
	s_delay_alu instid0(VALU_DEP_1)
	v_mul_lo_u32 v2, v4, s2
	v_mul_lo_u32 v5, v4, s3
	s_cbranch_scc1 .LBB19_55
; %bb.54:
	s_clause 0x1
	s_load_b128 s[4:7], s[0:1], 0x10
	s_load_b64 s[2:3], s[0:1], 0xcc
	s_waitcnt lgkmcnt(0)
	v_mul_hi_u32 v4, s5, v9
	s_delay_alu instid0(VALU_DEP_1) | instskip(NEXT) | instid1(VALU_DEP_1)
	v_add_nc_u32_e32 v4, v9, v4
	v_lshrrev_b32_e32 v4, s6, v4
	s_delay_alu instid0(VALU_DEP_1) | instskip(NEXT) | instid1(VALU_DEP_1)
	v_mul_lo_u32 v4, v4, s4
	v_sub_nc_u32_e32 v4, v9, v4
	s_delay_alu instid0(VALU_DEP_1) | instskip(SKIP_1) | instid1(VALU_DEP_1)
	v_mad_u64_u32 v[9:10], null, v4, s2, v[2:3]
	v_mad_u64_u32 v[10:11], null, v4, s3, v[5:6]
	v_dual_mov_b32 v2, v9 :: v_dual_mov_b32 v5, v10
.LBB19_55:
	v_cmp_ne_u32_e32 vcc_lo, 1, v3
	s_cbranch_vccnz .LBB19_61
; %bb.56:
	v_dual_mov_b32 v3, 0 :: v_dual_mov_b32 v4, 0
	s_cmp_lg_u32 s22, 0
	s_mov_b32 s6, 0
	s_cbranch_scc0 .LBB19_65
; %bb.57:
	s_min_u32 s7, s23, 15
	v_mov_b32_e32 v3, 0
	s_add_i32 s7, s7, 1
	s_cmp_eq_u32 s23, 2
	s_mov_b32 s8, 0
	s_cbranch_scc1 .LBB19_62
; %bb.58:
	v_dual_mov_b32 v4, 0 :: v_dual_mov_b32 v3, 0
	v_mov_b32_e32 v9, v8
	s_add_u32 s2, s0, 0xc4
	s_addc_u32 s3, s1, 0
	s_and_b32 s8, s7, 28
	s_mov_b32 s9, 0
	s_mov_b64 s[4:5], s[0:1]
.LBB19_59:                              ; =>This Inner Loop Header: Depth=1
	s_clause 0x1
	s_load_b256 s[12:19], s[4:5], 0x4
	s_load_b128 s[36:39], s[4:5], 0x24
	s_load_b256 s[24:31], s[2:3], 0x0
	s_add_u32 s4, s4, 48
	s_addc_u32 s5, s5, 0
	s_add_i32 s9, s9, 4
	s_add_u32 s2, s2, 32
	s_addc_u32 s3, s3, 0
	s_cmp_lg_u32 s8, s9
	s_waitcnt lgkmcnt(0)
	v_mul_hi_u32 v10, s13, v9
	s_delay_alu instid0(VALU_DEP_1) | instskip(NEXT) | instid1(VALU_DEP_1)
	v_add_nc_u32_e32 v10, v9, v10
	v_lshrrev_b32_e32 v10, s14, v10
	s_delay_alu instid0(VALU_DEP_1) | instskip(SKIP_1) | instid1(VALU_DEP_2)
	v_mul_hi_u32 v11, s16, v10
	v_mul_lo_u32 v13, v10, s12
	v_add_nc_u32_e32 v11, v10, v11
	s_delay_alu instid0(VALU_DEP_2) | instskip(NEXT) | instid1(VALU_DEP_2)
	v_sub_nc_u32_e32 v9, v9, v13
	v_lshrrev_b32_e32 v11, s17, v11
	s_delay_alu instid0(VALU_DEP_2) | instskip(SKIP_1) | instid1(VALU_DEP_3)
	v_mul_lo_u32 v13, v9, s24
	v_mul_lo_u32 v15, v9, s25
	v_mul_hi_u32 v12, s19, v11
	s_delay_alu instid0(VALU_DEP_1) | instskip(NEXT) | instid1(VALU_DEP_1)
	v_add_nc_u32_e32 v12, v11, v12
	v_lshrrev_b32_e32 v12, s36, v12
	s_delay_alu instid0(VALU_DEP_1) | instskip(SKIP_1) | instid1(VALU_DEP_2)
	v_mul_hi_u32 v14, s38, v12
	v_mul_lo_u32 v16, v12, s18
	v_add_nc_u32_e32 v9, v12, v14
	v_mul_lo_u32 v14, v11, s15
	s_delay_alu instid0(VALU_DEP_3) | instskip(NEXT) | instid1(VALU_DEP_3)
	v_sub_nc_u32_e32 v11, v11, v16
	v_lshrrev_b32_e32 v9, s39, v9
	s_delay_alu instid0(VALU_DEP_2) | instskip(SKIP_2) | instid1(VALU_DEP_4)
	v_mul_lo_u32 v16, v11, s28
	v_mul_lo_u32 v11, v11, s29
	v_sub_nc_u32_e32 v10, v10, v14
	v_mul_lo_u32 v17, v9, s37
	s_delay_alu instid0(VALU_DEP_2) | instskip(SKIP_1) | instid1(VALU_DEP_3)
	v_mul_lo_u32 v14, v10, s26
	v_mul_lo_u32 v10, v10, s27
	v_sub_nc_u32_e32 v12, v12, v17
	s_delay_alu instid0(VALU_DEP_3) | instskip(NEXT) | instid1(VALU_DEP_2)
	v_add3_u32 v3, v13, v3, v14
	v_mul_lo_u32 v17, v12, s30
	v_mul_lo_u32 v12, v12, s31
	v_add3_u32 v4, v15, v4, v10
	s_delay_alu instid0(VALU_DEP_3) | instskip(NEXT) | instid1(VALU_DEP_2)
	v_add3_u32 v3, v16, v3, v17
	v_add3_u32 v4, v11, v4, v12
	s_cbranch_scc1 .LBB19_59
; %bb.60:
	s_and_b32 s7, s7, 3
	s_delay_alu instid0(SALU_CYCLE_1)
	s_cmp_eq_u32 s7, 0
	s_cbranch_scc0 .LBB19_63
	s_branch .LBB19_65
.LBB19_61:
	s_mov_b32 s6, -1
                                        ; implicit-def: $vgpr3
                                        ; implicit-def: $vgpr4
	s_branch .LBB19_65
.LBB19_62:
	v_dual_mov_b32 v9, v8 :: v_dual_mov_b32 v4, 0
	s_and_b32 s7, s7, 3
	s_delay_alu instid0(SALU_CYCLE_1)
	s_cmp_eq_u32 s7, 0
	s_cbranch_scc1 .LBB19_65
.LBB19_63:
	s_lshl_b32 s2, s8, 3
	s_mul_i32 s4, s8, 12
	s_add_u32 s2, s2, s0
	s_addc_u32 s3, 0, s1
	s_add_u32 s2, s2, 0xc4
	s_addc_u32 s3, s3, 0
	;; [unrolled: 2-line block ×3, first 2 shown]
	.p2align	6
.LBB19_64:                              ; =>This Inner Loop Header: Depth=1
	s_clause 0x1
	s_load_b64 s[8:9], s[4:5], 0x4
	s_load_b32 s12, s[4:5], 0xc
	s_load_b64 s[10:11], s[2:3], 0x0
	s_add_u32 s4, s4, 12
	s_addc_u32 s5, s5, 0
	s_add_u32 s2, s2, 8
	s_addc_u32 s3, s3, 0
	s_add_i32 s7, s7, -1
	s_delay_alu instid0(SALU_CYCLE_1) | instskip(SKIP_2) | instid1(VALU_DEP_1)
	s_cmp_lg_u32 s7, 0
	s_waitcnt lgkmcnt(0)
	v_mul_hi_u32 v10, s9, v9
	v_add_nc_u32_e32 v10, v9, v10
	s_delay_alu instid0(VALU_DEP_1) | instskip(NEXT) | instid1(VALU_DEP_1)
	v_lshrrev_b32_e32 v13, s12, v10
	v_mul_lo_u32 v10, v13, s8
	s_delay_alu instid0(VALU_DEP_1) | instskip(NEXT) | instid1(VALU_DEP_1)
	v_sub_nc_u32_e32 v9, v9, v10
	v_mad_u64_u32 v[10:11], null, v9, s10, v[3:4]
	v_mad_u64_u32 v[11:12], null, v9, s11, v[4:5]
	v_mov_b32_e32 v9, v13
	s_delay_alu instid0(VALU_DEP_2)
	v_dual_mov_b32 v3, v10 :: v_dual_mov_b32 v4, v11
	s_cbranch_scc1 .LBB19_64
.LBB19_65:
	s_and_not1_b32 vcc_lo, exec_lo, s6
	s_cbranch_vccnz .LBB19_68
; %bb.66:
	s_clause 0x1
	s_load_b128 s[4:7], s[0:1], 0x4
	s_load_b64 s[2:3], s[0:1], 0xc4
	s_cmp_lt_u32 s22, 2
	s_waitcnt lgkmcnt(0)
	v_mul_hi_u32 v3, s5, v8
	s_delay_alu instid0(VALU_DEP_1) | instskip(NEXT) | instid1(VALU_DEP_1)
	v_add_nc_u32_e32 v3, v8, v3
	v_lshrrev_b32_e32 v9, s6, v3
	s_delay_alu instid0(VALU_DEP_1) | instskip(NEXT) | instid1(VALU_DEP_1)
	v_mul_lo_u32 v3, v9, s4
	v_sub_nc_u32_e32 v4, v8, v3
	s_delay_alu instid0(VALU_DEP_1)
	v_mul_lo_u32 v3, v4, s2
	v_mul_lo_u32 v4, v4, s3
	s_cbranch_scc1 .LBB19_68
; %bb.67:
	s_clause 0x1
	s_load_b128 s[4:7], s[0:1], 0x10
	s_load_b64 s[2:3], s[0:1], 0xcc
	s_waitcnt lgkmcnt(0)
	v_mul_hi_u32 v8, s5, v9
	s_delay_alu instid0(VALU_DEP_1) | instskip(NEXT) | instid1(VALU_DEP_1)
	v_add_nc_u32_e32 v8, v9, v8
	v_lshrrev_b32_e32 v8, s6, v8
	s_delay_alu instid0(VALU_DEP_1) | instskip(NEXT) | instid1(VALU_DEP_1)
	v_mul_lo_u32 v8, v8, s4
	v_sub_nc_u32_e32 v11, v9, v8
	s_delay_alu instid0(VALU_DEP_1) | instskip(SKIP_1) | instid1(VALU_DEP_1)
	v_mad_u64_u32 v[8:9], null, v11, s2, v[3:4]
	v_mad_u64_u32 v[9:10], null, v11, s3, v[4:5]
	v_dual_mov_b32 v3, v8 :: v_dual_mov_b32 v4, v9
.LBB19_68:
	s_load_b128 s[4:7], s[0:1], 0x148
	s_mov_b32 s1, exec_lo
	v_mov_b32_e32 v8, 0x7f800000
	s_waitcnt lgkmcnt(0)
	global_load_b32 v9, v7, s[6:7]
	v_mov_b32_e32 v7, 0x7f800000
	s_waitcnt vmcnt(0)
	v_cmpx_neq_f32_e32 0, v9
	s_cbranch_execz .LBB19_80
; %bb.69:
	v_mov_b32_e32 v8, 0x7fc00000
	s_mov_b32 s2, exec_lo
	v_cmpx_ngt_f32_e32 0, v9
	s_cbranch_execz .LBB19_79
; %bb.70:
                                        ; implicit-def: $vgpr8
	s_mov_b32 s0, exec_lo
	v_cmpx_ge_f32_e32 2.0, v9
	s_xor_b32 s3, exec_lo, s0
	s_cbranch_execz .LBB19_76
; %bb.71:
	s_mov_b32 s0, exec_lo
                                        ; implicit-def: $vgpr8
	v_cmpx_ge_f32_e32 0x41000000, v9
	s_xor_b32 s0, exec_lo, s0
	s_cbranch_execz .LBB19_73
; %bb.72:
	v_fma_f32 v8, v9, 0.5, -2.0
	s_mov_b32 s8, 0xa2a2e5b9
	v_mul_f32_e32 v12, 0x3fb8aa3b, v9
	v_cmp_ngt_f32_e32 vcc_lo, 0xc2ce8ed0, v9
	s_delay_alu instid0(VALU_DEP_3) | instskip(NEXT) | instid1(VALU_DEP_3)
	v_fmaak_f32 v10, s8, v8, 0x24199b15
	v_rndne_f32_e32 v13, v12
	v_fma_f32 v14, 0x3fb8aa3b, v9, -v12
	s_delay_alu instid0(VALU_DEP_3) | instskip(NEXT) | instid1(VALU_DEP_3)
	v_fmaak_f32 v11, v8, v10, 0x22a2e5b9
	v_sub_f32_e32 v12, v12, v13
	s_delay_alu instid0(VALU_DEP_3) | instskip(SKIP_1) | instid1(VALU_DEP_2)
	v_fmamk_f32 v14, v9, 0x32a5705f, v14
	v_cvt_i32_f32_e32 v13, v13
	v_dual_add_f32 v11, 0xa58c275c, v11 :: v_dual_add_f32 v12, v12, v14
	s_delay_alu instid0(VALU_DEP_1) | instskip(NEXT) | instid1(VALU_DEP_2)
	v_fma_f32 v10, v8, v11, -v10
	v_exp_f32_e32 v12, v12
	s_delay_alu instid0(VALU_DEP_1) | instskip(NEXT) | instid1(VALU_DEP_1)
	v_add_f32_e32 v10, 0x26f736c5, v10
	v_fma_f32 v11, v8, v10, -v11
	s_delay_alu instid0(VALU_DEP_1) | instskip(NEXT) | instid1(VALU_DEP_1)
	v_add_f32_e32 v11, 0xa8528116, v11
	v_fma_f32 v10, v8, v11, -v10
	;; [unrolled: 3-line block ×26, first 2 shown]
	v_ldexp_f32 v11, v12, v13
	s_delay_alu instid0(VALU_DEP_1) | instskip(SKIP_1) | instid1(VALU_DEP_2)
	v_dual_add_f32 v8, 0x3f2d4275, v8 :: v_dual_cndmask_b32 v11, 0, v11
	v_cmp_nlt_f32_e32 vcc_lo, 0x42b17218, v9
	v_sub_f32_e32 v8, v8, v10
	s_delay_alu instid0(VALU_DEP_3) | instskip(NEXT) | instid1(VALU_DEP_2)
	v_cndmask_b32_e32 v10, 0x7f800000, v11, vcc_lo
	v_mul_f32_e32 v8, 0.5, v8
	s_delay_alu instid0(VALU_DEP_1)
	v_mul_f32_e32 v8, v10, v8
.LBB19_73:
	s_and_not1_saveexec_b32 s8, s0
	s_cbranch_execz .LBB19_75
; %bb.74:
	v_div_scale_f32 v8, null, v9, v9, 0x42000000
	v_div_scale_f32 v12, vcc_lo, 0x42000000, v9, 0x42000000
	s_mov_b32 s0, 0xa3056dbb
	s_delay_alu instid0(VALU_DEP_2) | instskip(SKIP_2) | instid1(VALU_DEP_1)
	v_rcp_f32_e32 v10, v8
	s_waitcnt_depctr 0xfff
	v_fma_f32 v11, -v8, v10, 1.0
	v_fmac_f32_e32 v10, v11, v10
	s_delay_alu instid0(VALU_DEP_1) | instskip(NEXT) | instid1(VALU_DEP_1)
	v_mul_f32_e32 v11, v12, v10
	v_fma_f32 v13, -v8, v11, v12
	s_delay_alu instid0(VALU_DEP_1) | instskip(SKIP_1) | instid1(VALU_DEP_2)
	v_fmac_f32_e32 v11, v13, v10
	v_mul_f32_e32 v13, 0x3fb8aa3b, v9
	v_fma_f32 v8, -v8, v11, v12
	s_delay_alu instid0(VALU_DEP_2) | instskip(SKIP_2) | instid1(VALU_DEP_4)
	v_rndne_f32_e32 v14, v13
	v_mul_f32_e32 v12, 0x4f800000, v9
	v_fma_f32 v15, 0x3fb8aa3b, v9, -v13
	v_div_fmas_f32 v8, v8, v10, v11
	s_delay_alu instid0(VALU_DEP_4) | instskip(SKIP_1) | instid1(VALU_DEP_4)
	v_sub_f32_e32 v13, v13, v14
	v_cmp_gt_f32_e32 vcc_lo, 0xf800000, v9
	v_fmamk_f32 v15, v9, 0x32a5705f, v15
	v_cvt_i32_f32_e32 v14, v14
	v_div_fixup_f32 v8, v8, v9, 0x42000000
	v_cndmask_b32_e32 v12, v9, v12, vcc_lo
	s_delay_alu instid0(VALU_DEP_2) | instskip(NEXT) | instid1(VALU_DEP_2)
	v_dual_add_f32 v13, v13, v15 :: v_dual_add_f32 v8, -2.0, v8
	v_sqrt_f32_e32 v16, v12
	s_delay_alu instid0(VALU_DEP_1) | instskip(NEXT) | instid1(VALU_DEP_1)
	v_exp_f32_e32 v13, v13
	v_fmaak_f32 v10, s0, v8, 0xa2b236d3
	s_delay_alu instid0(VALU_DEP_1) | instskip(SKIP_4) | instid1(VALU_DEP_3)
	v_fmaak_f32 v11, v8, v10, 0x23056dbb
	s_waitcnt_depctr 0xfff
	v_add_nc_u32_e32 v15, -1, v16
	v_add_nc_u32_e32 v17, 1, v16
	v_add_f32_e32 v11, 0x244df0c1, v11
	v_fma_f32 v18, -v15, v16, v12
	s_delay_alu instid0(VALU_DEP_3) | instskip(NEXT) | instid1(VALU_DEP_3)
	v_fma_f32 v19, -v17, v16, v12
	v_fma_f32 v10, v8, v11, -v10
	s_delay_alu instid0(VALU_DEP_3) | instskip(NEXT) | instid1(VALU_DEP_2)
	v_cmp_ge_f32_e64 s0, 0, v18
	v_add_f32_e32 v10, 0x241f9ee8, v10
	s_delay_alu instid0(VALU_DEP_2) | instskip(SKIP_1) | instid1(VALU_DEP_3)
	v_cndmask_b32_e64 v15, v16, v15, s0
	v_cmp_lt_f32_e64 s0, 0, v19
	v_fma_f32 v11, v8, v10, -v11
	s_delay_alu instid0(VALU_DEP_1) | instskip(NEXT) | instid1(VALU_DEP_1)
	v_add_f32_e32 v11, 0xa5a3005d, v11
	v_fma_f32 v10, v8, v11, -v10
	s_delay_alu instid0(VALU_DEP_1) | instskip(NEXT) | instid1(VALU_DEP_1)
	v_add_f32_e32 v10, 0xa5c5773f, v10
	;; [unrolled: 3-line block ×20, first 2 shown]
	v_fma_f32 v8, v8, v10, -v11
	v_ldexp_f32 v10, v13, v14
	v_cndmask_b32_e64 v13, v15, v17, s0
	v_cmp_ngt_f32_e64 s0, 0xc2ce8ed0, v9
	s_delay_alu instid0(VALU_DEP_2) | instskip(SKIP_1) | instid1(VALU_DEP_3)
	v_mul_f32_e32 v14, 0x37800000, v13
	v_add_f32_e32 v8, 0x3f4df315, v8
	v_cndmask_b32_e64 v10, 0, v10, s0
	v_cmp_nlt_f32_e64 s0, 0x42b17218, v9
	s_delay_alu instid0(VALU_DEP_3) | instskip(NEXT) | instid1(VALU_DEP_2)
	v_dual_sub_f32 v8, v8, v11 :: v_dual_cndmask_b32 v11, v13, v14
	v_cndmask_b32_e64 v10, 0x7f800000, v10, s0
	v_cmp_class_f32_e64 vcc_lo, v12, 0x260
	s_delay_alu instid0(VALU_DEP_3) | instskip(NEXT) | instid1(VALU_DEP_4)
	v_mul_f32_e32 v8, 0.5, v8
	v_cndmask_b32_e32 v11, v11, v12, vcc_lo
	s_delay_alu instid0(VALU_DEP_2) | instskip(NEXT) | instid1(VALU_DEP_1)
	v_mul_f32_e32 v8, v10, v8
	v_div_scale_f32 v10, null, v11, v11, v8
	s_delay_alu instid0(VALU_DEP_1) | instskip(SKIP_2) | instid1(VALU_DEP_1)
	v_rcp_f32_e32 v12, v10
	s_waitcnt_depctr 0xfff
	v_fma_f32 v13, -v10, v12, 1.0
	v_fmac_f32_e32 v12, v13, v12
	v_div_scale_f32 v13, vcc_lo, v8, v11, v8
	s_delay_alu instid0(VALU_DEP_1) | instskip(NEXT) | instid1(VALU_DEP_1)
	v_mul_f32_e32 v14, v13, v12
	v_fma_f32 v15, -v10, v14, v13
	s_delay_alu instid0(VALU_DEP_1) | instskip(NEXT) | instid1(VALU_DEP_1)
	v_fmac_f32_e32 v14, v15, v12
	v_fma_f32 v10, -v10, v14, v13
	s_delay_alu instid0(VALU_DEP_1) | instskip(NEXT) | instid1(VALU_DEP_1)
	v_div_fmas_f32 v10, v10, v12, v14
	v_div_fixup_f32 v8, v10, v11, v8
.LBB19_75:
	s_or_b32 exec_lo, exec_lo, s8
	v_cvt_f64_f32_e32 v[10:11], v9
	s_mov_b32 s9, 0x3fe55555
	s_mov_b32 s8, 0x55555555
	v_fma_f32 v9, v9, v9, -2.0
	v_mov_b32_e32 v14, 0
	s_mov_b32 s10, 0x6b47b09a
	s_mov_b32 s12, 0xbf559e2b
	;; [unrolled: 1-line block ×5, first 2 shown]
	s_delay_alu instid0(VALU_DEP_3) | instskip(NEXT) | instid1(VALU_DEP_1)
	v_mul_f64 v[10:11], v[10:11], 0.5
	v_frexp_mant_f64_e32 v[12:13], v[10:11]
	s_delay_alu instid0(VALU_DEP_1) | instskip(SKIP_2) | instid1(VALU_DEP_1)
	v_cmp_gt_f64_e32 vcc_lo, s[8:9], v[12:13]
	s_mov_b32 s8, 0x55555780
	v_cndmask_b32_e64 v15, 0x3ff00000, 2.0, vcc_lo
	v_mul_f64 v[12:13], v[12:13], v[14:15]
	s_delay_alu instid0(VALU_DEP_1) | instskip(SKIP_1) | instid1(VALU_DEP_2)
	v_add_f64 v[14:15], v[12:13], 1.0
	v_add_f64 v[20:21], v[12:13], -1.0
	v_rcp_f64_e32 v[16:17], v[14:15]
	v_add_f64 v[22:23], v[14:15], -1.0
	s_delay_alu instid0(VALU_DEP_1) | instskip(SKIP_2) | instid1(VALU_DEP_1)
	v_add_f64 v[12:13], v[12:13], -v[22:23]
	s_waitcnt_depctr 0xfff
	v_fma_f64 v[18:19], -v[14:15], v[16:17], 1.0
	v_fma_f64 v[16:17], v[18:19], v[16:17], v[16:17]
	s_delay_alu instid0(VALU_DEP_1) | instskip(NEXT) | instid1(VALU_DEP_1)
	v_fma_f64 v[18:19], -v[14:15], v[16:17], 1.0
	v_fma_f64 v[16:17], v[18:19], v[16:17], v[16:17]
	s_delay_alu instid0(VALU_DEP_1) | instskip(NEXT) | instid1(VALU_DEP_1)
	v_mul_f64 v[18:19], v[20:21], v[16:17]
	v_mul_f64 v[24:25], v[14:15], v[18:19]
	s_delay_alu instid0(VALU_DEP_1) | instskip(NEXT) | instid1(VALU_DEP_1)
	v_fma_f64 v[14:15], v[18:19], v[14:15], -v[24:25]
	v_fma_f64 v[12:13], v[18:19], v[12:13], v[14:15]
	s_delay_alu instid0(VALU_DEP_1) | instskip(NEXT) | instid1(VALU_DEP_1)
	v_add_f64 v[14:15], v[24:25], v[12:13]
	v_add_f64 v[22:23], v[20:21], -v[14:15]
	v_add_f64 v[24:25], v[14:15], -v[24:25]
	s_delay_alu instid0(VALU_DEP_2) | instskip(NEXT) | instid1(VALU_DEP_2)
	v_add_f64 v[20:21], v[20:21], -v[22:23]
	v_add_f64 v[12:13], v[24:25], -v[12:13]
	v_frexp_exp_i32_f64_e32 v24, v[10:11]
	s_delay_alu instid0(VALU_DEP_3) | instskip(NEXT) | instid1(VALU_DEP_1)
	v_add_f64 v[14:15], v[20:21], -v[14:15]
	v_add_f64 v[12:13], v[12:13], v[14:15]
	s_delay_alu instid0(VALU_DEP_1) | instskip(NEXT) | instid1(VALU_DEP_1)
	v_add_f64 v[12:13], v[22:23], v[12:13]
	v_mul_f64 v[12:13], v[16:17], v[12:13]
	s_delay_alu instid0(VALU_DEP_1) | instskip(NEXT) | instid1(VALU_DEP_1)
	v_add_f64 v[14:15], v[18:19], v[12:13]
	v_mul_f64 v[16:17], v[14:15], v[14:15]
	s_delay_alu instid0(VALU_DEP_1) | instskip(SKIP_3) | instid1(VALU_DEP_2)
	v_fma_f64 v[20:21], v[16:17], s[12:13], s[10:11]
	s_mov_b32 s10, 0xd7f4df2e
	s_mov_b32 s11, 0x3fc7474d
	v_mul_f64 v[22:23], v[14:15], v[16:17]
	v_fma_f64 v[20:21], v[16:17], v[20:21], s[10:11]
	s_mov_b32 s10, 0x16291751
	s_mov_b32 s11, 0x3fcc71c0
	s_delay_alu instid0(VALU_DEP_1) | instid1(SALU_CYCLE_1)
	v_fma_f64 v[20:21], v[16:17], v[20:21], s[10:11]
	s_mov_b32 s10, 0x9b27acf1
	s_mov_b32 s11, 0x3fd24924
	s_delay_alu instid0(VALU_DEP_1) | instid1(SALU_CYCLE_1)
	;; [unrolled: 4-line block ×3, first 2 shown]
	v_fma_f64 v[20:21], v[16:17], v[20:21], s[10:11]
	s_delay_alu instid0(VALU_DEP_1) | instskip(SKIP_4) | instid1(VALU_DEP_3)
	v_fma_f64 v[16:17], v[16:17], v[20:21], s[8:9]
	v_ldexp_f64 v[20:21], v[14:15], 1
	v_add_f64 v[14:15], v[14:15], -v[18:19]
	s_mov_b32 s8, 0xfefa39ef
	s_mov_b32 s9, 0x3fe62e42
	v_mul_f64 v[16:17], v[22:23], v[16:17]
	v_subrev_co_ci_u32_e32 v22, vcc_lo, 0, v24, vcc_lo
	s_delay_alu instid0(VALU_DEP_3) | instskip(SKIP_1) | instid1(VALU_DEP_3)
	v_add_f64 v[12:13], v[12:13], -v[14:15]
	v_cmp_eq_f64_e32 vcc_lo, 0x7ff00000, v[10:11]
	v_cvt_f64_i32_e32 v[22:23], v22
	v_add_f64 v[18:19], v[20:21], v[16:17]
	s_delay_alu instid0(VALU_DEP_4) | instskip(NEXT) | instid1(VALU_DEP_3)
	v_ldexp_f64 v[12:13], v[12:13], 1
	v_mul_f64 v[24:25], v[22:23], s[8:9]
	s_delay_alu instid0(VALU_DEP_3) | instskip(NEXT) | instid1(VALU_DEP_2)
	v_add_f64 v[14:15], v[18:19], -v[20:21]
	v_fma_f64 v[20:21], v[22:23], s[8:9], -v[24:25]
	s_mov_b32 s8, 0x3b39803f
	s_mov_b32 s9, 0x3c7abc9e
	s_delay_alu instid0(VALU_DEP_2) | instskip(NEXT) | instid1(VALU_DEP_2)
	v_add_f64 v[14:15], v[16:17], -v[14:15]
	v_fma_f64 v[16:17], v[22:23], s[8:9], v[20:21]
	s_delay_alu instid0(VALU_DEP_2) | instskip(NEXT) | instid1(VALU_DEP_2)
	v_add_f64 v[12:13], v[12:13], v[14:15]
	v_add_f64 v[14:15], v[24:25], v[16:17]
	s_delay_alu instid0(VALU_DEP_2) | instskip(NEXT) | instid1(VALU_DEP_2)
	v_add_f64 v[20:21], v[18:19], v[12:13]
	v_add_f64 v[24:25], v[14:15], -v[24:25]
	s_delay_alu instid0(VALU_DEP_2) | instskip(SKIP_1) | instid1(VALU_DEP_3)
	v_add_f64 v[22:23], v[14:15], v[20:21]
	v_add_f64 v[18:19], v[20:21], -v[18:19]
	v_add_f64 v[16:17], v[16:17], -v[24:25]
	s_delay_alu instid0(VALU_DEP_3) | instskip(NEXT) | instid1(VALU_DEP_3)
	v_add_f64 v[26:27], v[22:23], -v[14:15]
	v_add_f64 v[12:13], v[12:13], -v[18:19]
	s_delay_alu instid0(VALU_DEP_2) | instskip(SKIP_1) | instid1(VALU_DEP_3)
	v_add_f64 v[28:29], v[22:23], -v[26:27]
	v_add_f64 v[18:19], v[20:21], -v[26:27]
	v_add_f64 v[20:21], v[16:17], v[12:13]
	s_delay_alu instid0(VALU_DEP_3) | instskip(NEXT) | instid1(VALU_DEP_1)
	v_add_f64 v[14:15], v[14:15], -v[28:29]
	v_add_f64 v[14:15], v[18:19], v[14:15]
	s_delay_alu instid0(VALU_DEP_3) | instskip(NEXT) | instid1(VALU_DEP_2)
	v_add_f64 v[18:19], v[20:21], -v[16:17]
	v_add_f64 v[14:15], v[20:21], v[14:15]
	s_delay_alu instid0(VALU_DEP_2) | instskip(SKIP_1) | instid1(VALU_DEP_3)
	v_add_f64 v[20:21], v[20:21], -v[18:19]
	v_add_f64 v[12:13], v[12:13], -v[18:19]
	v_add_f64 v[24:25], v[22:23], v[14:15]
	s_delay_alu instid0(VALU_DEP_3) | instskip(NEXT) | instid1(VALU_DEP_2)
	v_add_f64 v[16:17], v[16:17], -v[20:21]
	v_add_f64 v[18:19], v[24:25], -v[22:23]
	s_delay_alu instid0(VALU_DEP_2) | instskip(SKIP_1) | instid1(VALU_DEP_1)
	v_add_f64 v[12:13], v[12:13], v[16:17]
	v_fmaak_f32 v16, s0, v9, 0x293fd856
	v_fmaak_f32 v17, v9, v16, 0xa51e770f
	s_delay_alu instid0(VALU_DEP_1) | instskip(SKIP_1) | instid1(VALU_DEP_1)
	v_add_f32_e32 v17, 0x2d3612e2, v17
	v_add_f64 v[14:15], v[14:15], -v[18:19]
	v_add_f64 v[12:13], v[12:13], v[14:15]
	s_delay_alu instid0(VALU_DEP_3) | instskip(NEXT) | instid1(VALU_DEP_1)
	v_fma_f32 v14, v9, v17, -v16
	v_add_f32_e32 v14, 0x3102e09b, v14
	s_delay_alu instid0(VALU_DEP_1) | instskip(NEXT) | instid1(VALU_DEP_1)
	v_fma_f32 v15, v9, v14, -v17
	v_add_f32_e32 v15, 0x348815e7, v15
	s_delay_alu instid0(VALU_DEP_1) | instskip(SKIP_1) | instid1(VALU_DEP_1)
	v_fma_f32 v14, v9, v15, -v14
	v_add_f64 v[12:13], v[24:25], v[12:13]
	v_dual_add_f32 v14, 0x37bfc808, v14 :: v_dual_cndmask_b32 v13, v13, v11
	s_delay_alu instid0(VALU_DEP_1) | instskip(NEXT) | instid1(VALU_DEP_1)
	v_fma_f32 v15, v9, v14, -v15
	v_add_f32_e32 v15, 0x3aa5c174, v15
	s_delay_alu instid0(VALU_DEP_1) | instskip(NEXT) | instid1(VALU_DEP_1)
	v_fma_f32 v14, v9, v15, -v14
	v_add_f32_e32 v14, 0x3d135fb3, v14
	;; [unrolled: 3-line block ×3, first 2 shown]
	s_delay_alu instid0(VALU_DEP_1) | instskip(SKIP_3) | instid1(VALU_DEP_4)
	v_fma_f32 v9, v9, v15, -v14
	v_cndmask_b32_e32 v15, v12, v10, vcc_lo
	v_cmp_neq_f64_e32 vcc_lo, 0, v[10:11]
	v_cvt_f64_f32_e32 v[11:12], v8
	v_add_f32_e32 v9, 0xbf090b37, v9
	s_delay_alu instid0(VALU_DEP_1) | instskip(NEXT) | instid1(VALU_DEP_1)
	v_sub_f32_e32 v9, v9, v14
	v_mul_f32_e32 v9, 0.5, v9
	s_delay_alu instid0(VALU_DEP_1) | instskip(SKIP_2) | instid1(VALU_DEP_1)
	v_cvt_f64_f32_e32 v[9:10], v9
	v_cndmask_b32_e32 v14, 0xfff00000, v13, vcc_lo
	v_cndmask_b32_e32 v13, 0, v15, vcc_lo
	v_fma_f64 v[8:9], -v[13:14], v[11:12], v[9:10]
	s_delay_alu instid0(VALU_DEP_1)
	v_cvt_f32_f64_e32 v8, v[8:9]
                                        ; implicit-def: $vgpr9
.LBB19_76:
	s_and_not1_saveexec_b32 s3, s3
	s_cbranch_execz .LBB19_78
; %bb.77:
	v_div_scale_f32 v8, null, v9, v9, 0x41000000
	v_div_scale_f32 v12, vcc_lo, 0x41000000, v9, 0x41000000
	s_mov_b32 s0, 0x22c38d2e
	s_delay_alu instid0(VALU_DEP_2) | instskip(SKIP_2) | instid1(VALU_DEP_1)
	v_rcp_f32_e32 v10, v8
	s_waitcnt_depctr 0xfff
	v_fma_f32 v11, -v8, v10, 1.0
	v_fmac_f32_e32 v10, v11, v10
	s_delay_alu instid0(VALU_DEP_1) | instskip(NEXT) | instid1(VALU_DEP_1)
	v_mul_f32_e32 v11, v12, v10
	v_fma_f32 v13, -v8, v11, v12
	s_delay_alu instid0(VALU_DEP_1) | instskip(SKIP_1) | instid1(VALU_DEP_2)
	v_fmac_f32_e32 v11, v13, v10
	v_mul_f32_e32 v13, 0xbfb8aa3b, v9
	v_fma_f32 v8, -v8, v11, v12
	s_delay_alu instid0(VALU_DEP_2) | instskip(SKIP_2) | instid1(VALU_DEP_4)
	v_rndne_f32_e32 v14, v13
	v_mul_f32_e32 v12, 0x4f800000, v9
	v_fma_f32 v15, 0xbfb8aa3b, v9, -v13
	v_div_fmas_f32 v8, v8, v10, v11
	s_delay_alu instid0(VALU_DEP_4) | instskip(SKIP_1) | instid1(VALU_DEP_4)
	v_sub_f32_e32 v13, v13, v14
	v_cmp_gt_f32_e32 vcc_lo, 0xf800000, v9
	v_fmamk_f32 v15, v9, 0xb2a5705f, v15
	v_cvt_i32_f32_e32 v14, v14
	v_div_fixup_f32 v8, v8, v9, 0x41000000
	v_cndmask_b32_e32 v12, v9, v12, vcc_lo
	s_delay_alu instid0(VALU_DEP_2) | instskip(NEXT) | instid1(VALU_DEP_2)
	v_dual_add_f32 v13, v13, v15 :: v_dual_add_f32 v8, -2.0, v8
	v_sqrt_f32_e32 v16, v12
	s_delay_alu instid0(VALU_DEP_1) | instskip(NEXT) | instid1(VALU_DEP_1)
	v_exp_f32_e32 v13, v13
	v_fmaak_f32 v10, s0, v8, 0xa397f665
	s_delay_alu instid0(VALU_DEP_1) | instskip(SKIP_4) | instid1(VALU_DEP_3)
	v_fmaak_f32 v11, v8, v10, 0xa2c38d2e
	s_waitcnt_depctr 0xfff
	v_add_nc_u32_e32 v15, -1, v16
	v_add_nc_u32_e32 v17, 1, v16
	v_add_f32_e32 v11, 0x24704972, v11
	v_fma_f32 v18, -v15, v16, v12
	s_delay_alu instid0(VALU_DEP_3) | instskip(NEXT) | instid1(VALU_DEP_3)
	v_fma_f32 v19, -v17, v16, v12
	v_fma_f32 v10, v8, v11, -v10
	s_delay_alu instid0(VALU_DEP_3) | instskip(NEXT) | instid1(VALU_DEP_2)
	v_cmp_ge_f32_e64 s0, 0, v18
	v_add_f32_e32 v10, 0xa5417ca4, v10
	s_delay_alu instid0(VALU_DEP_2) | instskip(SKIP_1) | instid1(VALU_DEP_3)
	v_cndmask_b32_e64 v15, v16, v15, s0
	v_cmp_lt_f32_e64 s0, 0, v19
	v_fma_f32 v11, v8, v10, -v11
	s_delay_alu instid0(VALU_DEP_1) | instskip(NEXT) | instid1(VALU_DEP_1)
	v_add_f32_e32 v11, 0x261edfcb, v11
	v_fma_f32 v10, v8, v11, -v10
	s_delay_alu instid0(VALU_DEP_1) | instskip(NEXT) | instid1(VALU_DEP_1)
	v_add_f32_e32 v10, 0xa7053487, v10
	;; [unrolled: 3-line block ×20, first 2 shown]
	v_fma_f32 v8, v8, v10, -v11
	v_ldexp_f32 v10, v13, v14
	v_cndmask_b32_e64 v13, v15, v17, s0
	v_cmp_nlt_f32_e64 s0, 0x42ce8ed0, v9
	s_delay_alu instid0(VALU_DEP_4) | instskip(NEXT) | instid1(VALU_DEP_3)
	v_add_f32_e32 v8, 0x401c2ded, v8
	v_mul_f32_e32 v14, 0x37800000, v13
	s_delay_alu instid0(VALU_DEP_3) | instskip(SKIP_1) | instid1(VALU_DEP_4)
	v_cndmask_b32_e64 v10, 0, v10, s0
	v_cmp_ngt_f32_e64 s0, 0xc2b17218, v9
	v_sub_f32_e32 v8, v8, v11
	s_delay_alu instid0(VALU_DEP_2) | instskip(SKIP_1) | instid1(VALU_DEP_3)
	v_cndmask_b32_e64 v9, 0x7f800000, v10, s0
	v_cndmask_b32_e32 v10, v13, v14, vcc_lo
	v_mul_f32_e32 v8, 0.5, v8
	v_cmp_class_f32_e64 vcc_lo, v12, 0x260
	s_delay_alu instid0(VALU_DEP_2) | instskip(NEXT) | instid1(VALU_DEP_4)
	v_mul_f32_e32 v8, v9, v8
	v_cndmask_b32_e32 v10, v10, v12, vcc_lo
	s_delay_alu instid0(VALU_DEP_1) | instskip(NEXT) | instid1(VALU_DEP_1)
	v_div_scale_f32 v9, null, v10, v10, v8
	v_rcp_f32_e32 v11, v9
	s_waitcnt_depctr 0xfff
	v_fma_f32 v12, -v9, v11, 1.0
	s_delay_alu instid0(VALU_DEP_1) | instskip(SKIP_1) | instid1(VALU_DEP_1)
	v_fmac_f32_e32 v11, v12, v11
	v_div_scale_f32 v12, vcc_lo, v8, v10, v8
	v_mul_f32_e32 v13, v12, v11
	s_delay_alu instid0(VALU_DEP_1) | instskip(NEXT) | instid1(VALU_DEP_1)
	v_fma_f32 v14, -v9, v13, v12
	v_fmac_f32_e32 v13, v14, v11
	s_delay_alu instid0(VALU_DEP_1) | instskip(NEXT) | instid1(VALU_DEP_1)
	v_fma_f32 v9, -v9, v13, v12
	v_div_fmas_f32 v9, v9, v11, v13
	s_delay_alu instid0(VALU_DEP_1)
	v_div_fixup_f32 v8, v9, v10, v8
.LBB19_78:
	s_or_b32 exec_lo, exec_lo, s3
.LBB19_79:
	s_delay_alu instid0(SALU_CYCLE_1)
	s_or_b32 exec_lo, exec_lo, s2
.LBB19_80:
	s_delay_alu instid0(SALU_CYCLE_1)
	s_or_b32 exec_lo, exec_lo, s1
	global_load_b32 v6, v6, s[6:7]
	s_mov_b32 s1, exec_lo
	s_waitcnt vmcnt(0)
	v_cmpx_neq_f32_e32 0, v6
	s_cbranch_execz .LBB19_92
; %bb.81:
	v_mov_b32_e32 v7, 0x7fc00000
	s_mov_b32 s2, exec_lo
	v_cmpx_ngt_f32_e32 0, v6
	s_cbranch_execz .LBB19_91
; %bb.82:
                                        ; implicit-def: $vgpr7
	s_mov_b32 s0, exec_lo
	v_cmpx_ge_f32_e32 2.0, v6
	s_xor_b32 s3, exec_lo, s0
	s_cbranch_execz .LBB19_88
; %bb.83:
	s_mov_b32 s0, exec_lo
                                        ; implicit-def: $vgpr7
	v_cmpx_ge_f32_e32 0x41000000, v6
	s_xor_b32 s0, exec_lo, s0
	s_cbranch_execz .LBB19_85
; %bb.84:
	v_fma_f32 v7, v6, 0.5, -2.0
	s_mov_b32 s8, 0xa2a2e5b9
	v_mul_f32_e32 v11, 0x3fb8aa3b, v6
	v_cmp_ngt_f32_e32 vcc_lo, 0xc2ce8ed0, v6
	s_delay_alu instid0(VALU_DEP_3) | instskip(NEXT) | instid1(VALU_DEP_3)
	v_fmaak_f32 v9, s8, v7, 0x24199b15
	v_rndne_f32_e32 v12, v11
	v_fma_f32 v13, 0x3fb8aa3b, v6, -v11
	s_delay_alu instid0(VALU_DEP_3) | instskip(NEXT) | instid1(VALU_DEP_3)
	v_fmaak_f32 v10, v7, v9, 0x22a2e5b9
	v_sub_f32_e32 v11, v11, v12
	s_delay_alu instid0(VALU_DEP_3) | instskip(SKIP_1) | instid1(VALU_DEP_2)
	v_fmamk_f32 v13, v6, 0x32a5705f, v13
	v_cvt_i32_f32_e32 v12, v12
	v_dual_add_f32 v10, 0xa58c275c, v10 :: v_dual_add_f32 v11, v11, v13
	s_delay_alu instid0(VALU_DEP_1) | instskip(NEXT) | instid1(VALU_DEP_2)
	v_fma_f32 v9, v7, v10, -v9
	v_exp_f32_e32 v11, v11
	s_delay_alu instid0(VALU_DEP_1) | instskip(NEXT) | instid1(VALU_DEP_1)
	v_add_f32_e32 v9, 0x26f736c5, v9
	v_fma_f32 v10, v7, v9, -v10
	s_delay_alu instid0(VALU_DEP_1) | instskip(NEXT) | instid1(VALU_DEP_1)
	v_add_f32_e32 v10, 0xa8528116, v10
	v_fma_f32 v9, v7, v10, -v9
	;; [unrolled: 3-line block ×26, first 2 shown]
	v_ldexp_f32 v10, v11, v12
	s_delay_alu instid0(VALU_DEP_1) | instskip(SKIP_1) | instid1(VALU_DEP_2)
	v_dual_add_f32 v7, 0x3f2d4275, v7 :: v_dual_cndmask_b32 v10, 0, v10
	v_cmp_nlt_f32_e32 vcc_lo, 0x42b17218, v6
	v_sub_f32_e32 v7, v7, v9
	s_delay_alu instid0(VALU_DEP_3) | instskip(NEXT) | instid1(VALU_DEP_2)
	v_cndmask_b32_e32 v9, 0x7f800000, v10, vcc_lo
	v_mul_f32_e32 v7, 0.5, v7
	s_delay_alu instid0(VALU_DEP_1)
	v_mul_f32_e32 v7, v9, v7
.LBB19_85:
	s_and_not1_saveexec_b32 s8, s0
	s_cbranch_execz .LBB19_87
; %bb.86:
	v_div_scale_f32 v7, null, v6, v6, 0x42000000
	v_div_scale_f32 v11, vcc_lo, 0x42000000, v6, 0x42000000
	s_mov_b32 s0, 0xa3056dbb
	s_delay_alu instid0(VALU_DEP_2) | instskip(SKIP_2) | instid1(VALU_DEP_1)
	v_rcp_f32_e32 v9, v7
	s_waitcnt_depctr 0xfff
	v_fma_f32 v10, -v7, v9, 1.0
	v_fmac_f32_e32 v9, v10, v9
	s_delay_alu instid0(VALU_DEP_1) | instskip(NEXT) | instid1(VALU_DEP_1)
	v_mul_f32_e32 v10, v11, v9
	v_fma_f32 v12, -v7, v10, v11
	s_delay_alu instid0(VALU_DEP_1) | instskip(SKIP_1) | instid1(VALU_DEP_2)
	v_fmac_f32_e32 v10, v12, v9
	v_mul_f32_e32 v12, 0x3fb8aa3b, v6
	v_fma_f32 v7, -v7, v10, v11
	s_delay_alu instid0(VALU_DEP_2) | instskip(SKIP_2) | instid1(VALU_DEP_4)
	v_rndne_f32_e32 v13, v12
	v_mul_f32_e32 v11, 0x4f800000, v6
	v_fma_f32 v14, 0x3fb8aa3b, v6, -v12
	v_div_fmas_f32 v7, v7, v9, v10
	s_delay_alu instid0(VALU_DEP_4) | instskip(SKIP_1) | instid1(VALU_DEP_4)
	v_sub_f32_e32 v12, v12, v13
	v_cmp_gt_f32_e32 vcc_lo, 0xf800000, v6
	v_fmamk_f32 v14, v6, 0x32a5705f, v14
	v_cvt_i32_f32_e32 v13, v13
	v_div_fixup_f32 v7, v7, v6, 0x42000000
	s_delay_alu instid0(VALU_DEP_3) | instskip(NEXT) | instid1(VALU_DEP_2)
	v_dual_cndmask_b32 v11, v6, v11 :: v_dual_add_f32 v12, v12, v14
	v_add_f32_e32 v7, -2.0, v7
	s_delay_alu instid0(VALU_DEP_2) | instskip(NEXT) | instid1(VALU_DEP_2)
	v_sqrt_f32_e32 v15, v11
	v_exp_f32_e32 v12, v12
	s_delay_alu instid0(VALU_DEP_1) | instskip(NEXT) | instid1(VALU_DEP_1)
	v_fmaak_f32 v9, s0, v7, 0xa2b236d3
	v_fmaak_f32 v10, v7, v9, 0x23056dbb
	s_waitcnt_depctr 0xfff
	v_add_nc_u32_e32 v14, -1, v15
	v_add_nc_u32_e32 v16, 1, v15
	v_add_f32_e32 v10, 0x244df0c1, v10
	s_delay_alu instid0(VALU_DEP_3) | instskip(NEXT) | instid1(VALU_DEP_3)
	v_fma_f32 v17, -v14, v15, v11
	v_fma_f32 v18, -v16, v15, v11
	s_delay_alu instid0(VALU_DEP_3) | instskip(NEXT) | instid1(VALU_DEP_3)
	v_fma_f32 v9, v7, v10, -v9
	v_cmp_ge_f32_e64 s0, 0, v17
	s_delay_alu instid0(VALU_DEP_2) | instskip(NEXT) | instid1(VALU_DEP_2)
	v_add_f32_e32 v9, 0x241f9ee8, v9
	v_cndmask_b32_e64 v14, v15, v14, s0
	v_cmp_lt_f32_e64 s0, 0, v18
	s_delay_alu instid0(VALU_DEP_3) | instskip(NEXT) | instid1(VALU_DEP_1)
	v_fma_f32 v10, v7, v9, -v10
	v_add_f32_e32 v10, 0xa5a3005d, v10
	s_delay_alu instid0(VALU_DEP_1) | instskip(NEXT) | instid1(VALU_DEP_1)
	v_fma_f32 v9, v7, v10, -v9
	v_add_f32_e32 v9, 0xa5c5773f, v9
	s_delay_alu instid0(VALU_DEP_1) | instskip(NEXT) | instid1(VALU_DEP_1)
	v_fma_f32 v10, v7, v9, -v10
	v_add_f32_e32 v10, 0x26ff73ed, v10
	s_delay_alu instid0(VALU_DEP_1) | instskip(NEXT) | instid1(VALU_DEP_1)
	v_fma_f32 v9, v7, v10, -v9
	v_add_f32_e32 v9, 0x2789548d, v9
	s_delay_alu instid0(VALU_DEP_1) | instskip(NEXT) | instid1(VALU_DEP_1)
	v_fma_f32 v10, v7, v9, -v10
	v_add_f32_e32 v10, 0xa82c1ff4, v10
	s_delay_alu instid0(VALU_DEP_1) | instskip(NEXT) | instid1(VALU_DEP_1)
	v_fma_f32 v9, v7, v10, -v9
	v_add_f32_e32 v9, 0xa93aecce, v9
	s_delay_alu instid0(VALU_DEP_1) | instskip(NEXT) | instid1(VALU_DEP_1)
	v_fma_f32 v10, v7, v9, -v10
	v_add_f32_e32 v10, 0x288ab7f8, v10
	s_delay_alu instid0(VALU_DEP_1) | instskip(NEXT) | instid1(VALU_DEP_1)
	v_fma_f32 v9, v7, v10, -v9
	v_add_f32_e32 v9, 0x2ad8e463, v9
	s_delay_alu instid0(VALU_DEP_1) | instskip(NEXT) | instid1(VALU_DEP_1)
	v_fma_f32 v10, v7, v9, -v10
	v_add_f32_e32 v10, 0x2b4a1a40, v10
	s_delay_alu instid0(VALU_DEP_1) | instskip(NEXT) | instid1(VALU_DEP_1)
	v_fma_f32 v9, v7, v10, -v9
	v_add_f32_e32 v9, 0xabfc8218, v9
	s_delay_alu instid0(VALU_DEP_1) | instskip(NEXT) | instid1(VALU_DEP_1)
	v_fma_f32 v10, v7, v9, -v10
	v_add_f32_e32 v10, 0xad687eba, v10
	s_delay_alu instid0(VALU_DEP_1) | instskip(NEXT) | instid1(VALU_DEP_1)
	v_fma_f32 v9, v7, v10, -v9
	v_add_f32_e32 v9, 0xae0a88e8, v9
	s_delay_alu instid0(VALU_DEP_1) | instskip(NEXT) | instid1(VALU_DEP_1)
	v_fma_f32 v10, v7, v9, -v10
	v_add_f32_e32 v10, 0x2d5127f5, v10
	s_delay_alu instid0(VALU_DEP_1) | instskip(NEXT) | instid1(VALU_DEP_1)
	v_fma_f32 v9, v7, v10, -v9
	v_add_f32_e32 v9, 0x3007ce66, v9
	s_delay_alu instid0(VALU_DEP_1) | instskip(NEXT) | instid1(VALU_DEP_1)
	v_fma_f32 v10, v7, v9, -v10
	v_add_f32_e32 v10, 0x31696325, v10
	s_delay_alu instid0(VALU_DEP_1) | instskip(NEXT) | instid1(VALU_DEP_1)
	v_fma_f32 v9, v7, v10, -v9
	v_add_f32_e32 v9, 0x32c2b494, v9
	s_delay_alu instid0(VALU_DEP_1) | instskip(NEXT) | instid1(VALU_DEP_1)
	v_fma_f32 v10, v7, v9, -v10
	v_add_f32_e32 v10, 0x345c003f, v10
	s_delay_alu instid0(VALU_DEP_1) | instskip(NEXT) | instid1(VALU_DEP_1)
	v_fma_f32 v9, v7, v10, -v9
	v_add_f32_e32 v9, 0x3642095e, v9
	s_delay_alu instid0(VALU_DEP_1) | instskip(NEXT) | instid1(VALU_DEP_1)
	v_fma_f32 v10, v7, v9, -v10
	v_add_f32_e32 v10, 0x38907d1c, v10
	s_delay_alu instid0(VALU_DEP_1) | instskip(NEXT) | instid1(VALU_DEP_1)
	v_fma_f32 v9, v7, v10, -v9
	v_add_f32_e32 v9, 0x3b5ccc65, v9
	s_delay_alu instid0(VALU_DEP_1) | instskip(SKIP_3) | instid1(VALU_DEP_2)
	v_fma_f32 v7, v7, v9, -v10
	v_ldexp_f32 v9, v12, v13
	v_cndmask_b32_e64 v12, v14, v16, s0
	v_cmp_ngt_f32_e64 s0, 0xc2ce8ed0, v6
	v_mul_f32_e32 v13, 0x37800000, v12
	v_add_f32_e32 v7, 0x3f4df315, v7
	s_delay_alu instid0(VALU_DEP_3) | instskip(SKIP_1) | instid1(VALU_DEP_3)
	v_cndmask_b32_e64 v9, 0, v9, s0
	v_cmp_nlt_f32_e64 s0, 0x42b17218, v6
	v_dual_sub_f32 v7, v7, v10 :: v_dual_cndmask_b32 v10, v12, v13
	s_delay_alu instid0(VALU_DEP_2) | instskip(SKIP_1) | instid1(VALU_DEP_3)
	v_cndmask_b32_e64 v9, 0x7f800000, v9, s0
	v_cmp_class_f32_e64 vcc_lo, v11, 0x260
	v_mul_f32_e32 v7, 0.5, v7
	s_delay_alu instid0(VALU_DEP_4) | instskip(NEXT) | instid1(VALU_DEP_2)
	v_cndmask_b32_e32 v10, v10, v11, vcc_lo
	v_mul_f32_e32 v7, v9, v7
	s_delay_alu instid0(VALU_DEP_1) | instskip(NEXT) | instid1(VALU_DEP_1)
	v_div_scale_f32 v9, null, v10, v10, v7
	v_rcp_f32_e32 v11, v9
	s_waitcnt_depctr 0xfff
	v_fma_f32 v12, -v9, v11, 1.0
	s_delay_alu instid0(VALU_DEP_1) | instskip(SKIP_1) | instid1(VALU_DEP_1)
	v_fmac_f32_e32 v11, v12, v11
	v_div_scale_f32 v12, vcc_lo, v7, v10, v7
	v_mul_f32_e32 v13, v12, v11
	s_delay_alu instid0(VALU_DEP_1) | instskip(NEXT) | instid1(VALU_DEP_1)
	v_fma_f32 v14, -v9, v13, v12
	v_fmac_f32_e32 v13, v14, v11
	s_delay_alu instid0(VALU_DEP_1) | instskip(NEXT) | instid1(VALU_DEP_1)
	v_fma_f32 v9, -v9, v13, v12
	v_div_fmas_f32 v9, v9, v11, v13
	s_delay_alu instid0(VALU_DEP_1)
	v_div_fixup_f32 v7, v9, v10, v7
.LBB19_87:
	s_or_b32 exec_lo, exec_lo, s8
	v_cvt_f64_f32_e32 v[9:10], v6
	s_mov_b32 s9, 0x3fe55555
	s_mov_b32 s8, 0x55555555
	v_fma_f32 v6, v6, v6, -2.0
	v_mov_b32_e32 v13, 0
	s_mov_b32 s10, 0x6b47b09a
	s_mov_b32 s12, 0xbf559e2b
	;; [unrolled: 1-line block ×5, first 2 shown]
	s_delay_alu instid0(VALU_DEP_3) | instskip(NEXT) | instid1(VALU_DEP_1)
	v_mul_f64 v[9:10], v[9:10], 0.5
	v_frexp_mant_f64_e32 v[11:12], v[9:10]
	s_delay_alu instid0(VALU_DEP_1) | instskip(SKIP_2) | instid1(VALU_DEP_1)
	v_cmp_gt_f64_e32 vcc_lo, s[8:9], v[11:12]
	s_mov_b32 s8, 0x55555780
	v_cndmask_b32_e64 v14, 0x3ff00000, 2.0, vcc_lo
	v_mul_f64 v[11:12], v[11:12], v[13:14]
	s_delay_alu instid0(VALU_DEP_1) | instskip(SKIP_1) | instid1(VALU_DEP_2)
	v_add_f64 v[13:14], v[11:12], 1.0
	v_add_f64 v[19:20], v[11:12], -1.0
	v_rcp_f64_e32 v[15:16], v[13:14]
	v_add_f64 v[21:22], v[13:14], -1.0
	s_delay_alu instid0(VALU_DEP_1) | instskip(SKIP_2) | instid1(VALU_DEP_1)
	v_add_f64 v[11:12], v[11:12], -v[21:22]
	s_waitcnt_depctr 0xfff
	v_fma_f64 v[17:18], -v[13:14], v[15:16], 1.0
	v_fma_f64 v[15:16], v[17:18], v[15:16], v[15:16]
	s_delay_alu instid0(VALU_DEP_1) | instskip(NEXT) | instid1(VALU_DEP_1)
	v_fma_f64 v[17:18], -v[13:14], v[15:16], 1.0
	v_fma_f64 v[15:16], v[17:18], v[15:16], v[15:16]
	s_delay_alu instid0(VALU_DEP_1) | instskip(NEXT) | instid1(VALU_DEP_1)
	v_mul_f64 v[17:18], v[19:20], v[15:16]
	v_mul_f64 v[23:24], v[13:14], v[17:18]
	s_delay_alu instid0(VALU_DEP_1) | instskip(NEXT) | instid1(VALU_DEP_1)
	v_fma_f64 v[13:14], v[17:18], v[13:14], -v[23:24]
	v_fma_f64 v[11:12], v[17:18], v[11:12], v[13:14]
	s_delay_alu instid0(VALU_DEP_1) | instskip(NEXT) | instid1(VALU_DEP_1)
	v_add_f64 v[13:14], v[23:24], v[11:12]
	v_add_f64 v[21:22], v[19:20], -v[13:14]
	v_add_f64 v[23:24], v[13:14], -v[23:24]
	s_delay_alu instid0(VALU_DEP_2) | instskip(NEXT) | instid1(VALU_DEP_2)
	v_add_f64 v[19:20], v[19:20], -v[21:22]
	v_add_f64 v[11:12], v[23:24], -v[11:12]
	v_frexp_exp_i32_f64_e32 v23, v[9:10]
	s_delay_alu instid0(VALU_DEP_3) | instskip(NEXT) | instid1(VALU_DEP_1)
	v_add_f64 v[13:14], v[19:20], -v[13:14]
	v_add_f64 v[11:12], v[11:12], v[13:14]
	s_delay_alu instid0(VALU_DEP_1) | instskip(NEXT) | instid1(VALU_DEP_1)
	v_add_f64 v[11:12], v[21:22], v[11:12]
	v_mul_f64 v[11:12], v[15:16], v[11:12]
	s_delay_alu instid0(VALU_DEP_1) | instskip(NEXT) | instid1(VALU_DEP_1)
	v_add_f64 v[13:14], v[17:18], v[11:12]
	v_mul_f64 v[15:16], v[13:14], v[13:14]
	s_delay_alu instid0(VALU_DEP_1) | instskip(SKIP_3) | instid1(VALU_DEP_2)
	v_fma_f64 v[19:20], v[15:16], s[12:13], s[10:11]
	s_mov_b32 s10, 0xd7f4df2e
	s_mov_b32 s11, 0x3fc7474d
	v_mul_f64 v[21:22], v[13:14], v[15:16]
	v_fma_f64 v[19:20], v[15:16], v[19:20], s[10:11]
	s_mov_b32 s10, 0x16291751
	s_mov_b32 s11, 0x3fcc71c0
	s_delay_alu instid0(VALU_DEP_1) | instid1(SALU_CYCLE_1)
	v_fma_f64 v[19:20], v[15:16], v[19:20], s[10:11]
	s_mov_b32 s10, 0x9b27acf1
	s_mov_b32 s11, 0x3fd24924
	s_delay_alu instid0(VALU_DEP_1) | instid1(SALU_CYCLE_1)
	;; [unrolled: 4-line block ×3, first 2 shown]
	v_fma_f64 v[19:20], v[15:16], v[19:20], s[10:11]
	s_delay_alu instid0(VALU_DEP_1) | instskip(SKIP_4) | instid1(VALU_DEP_3)
	v_fma_f64 v[15:16], v[15:16], v[19:20], s[8:9]
	v_ldexp_f64 v[19:20], v[13:14], 1
	v_add_f64 v[13:14], v[13:14], -v[17:18]
	s_mov_b32 s8, 0xfefa39ef
	s_mov_b32 s9, 0x3fe62e42
	v_mul_f64 v[15:16], v[21:22], v[15:16]
	v_subrev_co_ci_u32_e32 v21, vcc_lo, 0, v23, vcc_lo
	s_delay_alu instid0(VALU_DEP_3) | instskip(SKIP_1) | instid1(VALU_DEP_3)
	v_add_f64 v[11:12], v[11:12], -v[13:14]
	v_cmp_eq_f64_e32 vcc_lo, 0x7ff00000, v[9:10]
	v_cvt_f64_i32_e32 v[21:22], v21
	v_add_f64 v[17:18], v[19:20], v[15:16]
	s_delay_alu instid0(VALU_DEP_4) | instskip(NEXT) | instid1(VALU_DEP_3)
	v_ldexp_f64 v[11:12], v[11:12], 1
	v_mul_f64 v[23:24], v[21:22], s[8:9]
	s_delay_alu instid0(VALU_DEP_3) | instskip(NEXT) | instid1(VALU_DEP_2)
	v_add_f64 v[13:14], v[17:18], -v[19:20]
	v_fma_f64 v[19:20], v[21:22], s[8:9], -v[23:24]
	s_mov_b32 s8, 0x3b39803f
	s_mov_b32 s9, 0x3c7abc9e
	s_delay_alu instid0(VALU_DEP_2) | instskip(NEXT) | instid1(VALU_DEP_2)
	v_add_f64 v[13:14], v[15:16], -v[13:14]
	v_fma_f64 v[15:16], v[21:22], s[8:9], v[19:20]
	s_delay_alu instid0(VALU_DEP_2) | instskip(NEXT) | instid1(VALU_DEP_2)
	v_add_f64 v[11:12], v[11:12], v[13:14]
	v_add_f64 v[13:14], v[23:24], v[15:16]
	s_delay_alu instid0(VALU_DEP_2) | instskip(NEXT) | instid1(VALU_DEP_2)
	v_add_f64 v[19:20], v[17:18], v[11:12]
	v_add_f64 v[23:24], v[13:14], -v[23:24]
	s_delay_alu instid0(VALU_DEP_2) | instskip(SKIP_1) | instid1(VALU_DEP_3)
	v_add_f64 v[21:22], v[13:14], v[19:20]
	v_add_f64 v[17:18], v[19:20], -v[17:18]
	v_add_f64 v[15:16], v[15:16], -v[23:24]
	s_delay_alu instid0(VALU_DEP_3) | instskip(NEXT) | instid1(VALU_DEP_3)
	v_add_f64 v[25:26], v[21:22], -v[13:14]
	v_add_f64 v[11:12], v[11:12], -v[17:18]
	s_delay_alu instid0(VALU_DEP_2) | instskip(SKIP_1) | instid1(VALU_DEP_3)
	v_add_f64 v[27:28], v[21:22], -v[25:26]
	v_add_f64 v[17:18], v[19:20], -v[25:26]
	v_add_f64 v[19:20], v[15:16], v[11:12]
	s_delay_alu instid0(VALU_DEP_3) | instskip(NEXT) | instid1(VALU_DEP_1)
	v_add_f64 v[13:14], v[13:14], -v[27:28]
	v_add_f64 v[13:14], v[17:18], v[13:14]
	s_delay_alu instid0(VALU_DEP_3) | instskip(NEXT) | instid1(VALU_DEP_2)
	v_add_f64 v[17:18], v[19:20], -v[15:16]
	v_add_f64 v[13:14], v[19:20], v[13:14]
	s_delay_alu instid0(VALU_DEP_2) | instskip(SKIP_1) | instid1(VALU_DEP_3)
	v_add_f64 v[19:20], v[19:20], -v[17:18]
	v_add_f64 v[11:12], v[11:12], -v[17:18]
	v_add_f64 v[23:24], v[21:22], v[13:14]
	s_delay_alu instid0(VALU_DEP_3) | instskip(NEXT) | instid1(VALU_DEP_2)
	v_add_f64 v[15:16], v[15:16], -v[19:20]
	v_add_f64 v[17:18], v[23:24], -v[21:22]
	s_delay_alu instid0(VALU_DEP_2) | instskip(SKIP_1) | instid1(VALU_DEP_1)
	v_add_f64 v[11:12], v[11:12], v[15:16]
	v_fmaak_f32 v15, s0, v6, 0x293fd856
	v_fmaak_f32 v16, v6, v15, 0xa51e770f
	s_delay_alu instid0(VALU_DEP_4) | instskip(NEXT) | instid1(VALU_DEP_1)
	v_add_f64 v[13:14], v[13:14], -v[17:18]
	v_add_f64 v[11:12], v[11:12], v[13:14]
	s_delay_alu instid0(VALU_DEP_1) | instskip(NEXT) | instid1(VALU_DEP_1)
	v_add_f64 v[11:12], v[23:24], v[11:12]
	v_dual_add_f32 v16, 0x2d3612e2, v16 :: v_dual_cndmask_b32 v11, v11, v9
	s_delay_alu instid0(VALU_DEP_2) | instskip(SKIP_1) | instid1(VALU_DEP_3)
	v_cndmask_b32_e32 v12, v12, v10, vcc_lo
	v_cmp_neq_f64_e32 vcc_lo, 0, v[9:10]
	v_fma_f32 v13, v6, v16, -v15
	s_delay_alu instid0(VALU_DEP_1) | instskip(NEXT) | instid1(VALU_DEP_1)
	v_add_f32_e32 v13, 0x3102e09b, v13
	v_fma_f32 v14, v6, v13, -v16
	s_delay_alu instid0(VALU_DEP_1) | instskip(NEXT) | instid1(VALU_DEP_1)
	v_dual_add_f32 v14, 0x348815e7, v14 :: v_dual_cndmask_b32 v11, 0, v11
	v_fma_f32 v13, v6, v14, -v13
	v_cndmask_b32_e32 v12, 0xfff00000, v12, vcc_lo
	s_delay_alu instid0(VALU_DEP_2) | instskip(NEXT) | instid1(VALU_DEP_1)
	v_add_f32_e32 v13, 0x37bfc808, v13
	v_fma_f32 v14, v6, v13, -v14
	s_delay_alu instid0(VALU_DEP_1) | instskip(NEXT) | instid1(VALU_DEP_1)
	v_add_f32_e32 v14, 0x3aa5c174, v14
	v_fma_f32 v13, v6, v14, -v13
	s_delay_alu instid0(VALU_DEP_1) | instskip(NEXT) | instid1(VALU_DEP_1)
	;; [unrolled: 3-line block ×4, first 2 shown]
	v_add_f32_e32 v6, 0xbf090b37, v6
	v_sub_f32_e32 v6, v6, v13
	s_delay_alu instid0(VALU_DEP_1) | instskip(NEXT) | instid1(VALU_DEP_1)
	v_mul_f32_e32 v6, 0.5, v6
	v_cvt_f64_f32_e32 v[9:10], v6
	v_cvt_f64_f32_e32 v[6:7], v7
	s_delay_alu instid0(VALU_DEP_1) | instskip(NEXT) | instid1(VALU_DEP_1)
	v_fma_f64 v[6:7], -v[11:12], v[6:7], v[9:10]
	v_cvt_f32_f64_e32 v7, v[6:7]
                                        ; implicit-def: $vgpr6
.LBB19_88:
	s_and_not1_saveexec_b32 s3, s3
	s_cbranch_execz .LBB19_90
; %bb.89:
	v_div_scale_f32 v7, null, v6, v6, 0x41000000
	v_div_scale_f32 v11, vcc_lo, 0x41000000, v6, 0x41000000
	s_mov_b32 s0, 0x22c38d2e
	s_delay_alu instid0(VALU_DEP_2) | instskip(SKIP_2) | instid1(VALU_DEP_1)
	v_rcp_f32_e32 v9, v7
	s_waitcnt_depctr 0xfff
	v_fma_f32 v10, -v7, v9, 1.0
	v_fmac_f32_e32 v9, v10, v9
	s_delay_alu instid0(VALU_DEP_1) | instskip(NEXT) | instid1(VALU_DEP_1)
	v_mul_f32_e32 v10, v11, v9
	v_fma_f32 v12, -v7, v10, v11
	s_delay_alu instid0(VALU_DEP_1) | instskip(SKIP_1) | instid1(VALU_DEP_2)
	v_fmac_f32_e32 v10, v12, v9
	v_mul_f32_e32 v12, 0xbfb8aa3b, v6
	v_fma_f32 v7, -v7, v10, v11
	s_delay_alu instid0(VALU_DEP_2) | instskip(SKIP_2) | instid1(VALU_DEP_4)
	v_rndne_f32_e32 v13, v12
	v_mul_f32_e32 v11, 0x4f800000, v6
	v_fma_f32 v14, 0xbfb8aa3b, v6, -v12
	v_div_fmas_f32 v7, v7, v9, v10
	s_delay_alu instid0(VALU_DEP_4) | instskip(SKIP_1) | instid1(VALU_DEP_4)
	v_sub_f32_e32 v12, v12, v13
	v_cmp_gt_f32_e32 vcc_lo, 0xf800000, v6
	v_fmamk_f32 v14, v6, 0xb2a5705f, v14
	v_cvt_i32_f32_e32 v13, v13
	v_div_fixup_f32 v7, v7, v6, 0x41000000
	s_delay_alu instid0(VALU_DEP_3) | instskip(NEXT) | instid1(VALU_DEP_2)
	v_dual_cndmask_b32 v11, v6, v11 :: v_dual_add_f32 v12, v12, v14
	v_add_f32_e32 v7, -2.0, v7
	s_delay_alu instid0(VALU_DEP_2) | instskip(NEXT) | instid1(VALU_DEP_2)
	v_sqrt_f32_e32 v15, v11
	v_exp_f32_e32 v12, v12
	s_delay_alu instid0(VALU_DEP_1) | instskip(NEXT) | instid1(VALU_DEP_1)
	v_fmaak_f32 v9, s0, v7, 0xa397f665
	v_fmaak_f32 v10, v7, v9, 0xa2c38d2e
	s_waitcnt_depctr 0xfff
	v_add_nc_u32_e32 v14, -1, v15
	v_add_nc_u32_e32 v16, 1, v15
	v_add_f32_e32 v10, 0x24704972, v10
	s_delay_alu instid0(VALU_DEP_3) | instskip(NEXT) | instid1(VALU_DEP_3)
	v_fma_f32 v17, -v14, v15, v11
	v_fma_f32 v18, -v16, v15, v11
	s_delay_alu instid0(VALU_DEP_3) | instskip(NEXT) | instid1(VALU_DEP_3)
	v_fma_f32 v9, v7, v10, -v9
	v_cmp_ge_f32_e64 s0, 0, v17
	s_delay_alu instid0(VALU_DEP_2) | instskip(NEXT) | instid1(VALU_DEP_2)
	v_add_f32_e32 v9, 0xa5417ca4, v9
	v_cndmask_b32_e64 v14, v15, v14, s0
	v_cmp_lt_f32_e64 s0, 0, v18
	s_delay_alu instid0(VALU_DEP_3) | instskip(NEXT) | instid1(VALU_DEP_1)
	v_fma_f32 v10, v7, v9, -v10
	v_add_f32_e32 v10, 0x261edfcb, v10
	s_delay_alu instid0(VALU_DEP_1) | instskip(NEXT) | instid1(VALU_DEP_1)
	v_fma_f32 v9, v7, v10, -v9
	v_add_f32_e32 v9, 0xa7053487, v9
	s_delay_alu instid0(VALU_DEP_1) | instskip(NEXT) | instid1(VALU_DEP_1)
	;; [unrolled: 3-line block ×19, first 2 shown]
	v_fma_f32 v9, v7, v10, -v9
	v_add_f32_e32 v9, 0xbd00cfb9, v9
	s_delay_alu instid0(VALU_DEP_1) | instskip(SKIP_3) | instid1(VALU_DEP_4)
	v_fma_f32 v7, v7, v9, -v10
	v_ldexp_f32 v9, v12, v13
	v_cndmask_b32_e64 v12, v14, v16, s0
	v_cmp_nlt_f32_e64 s0, 0x42ce8ed0, v6
	v_add_f32_e32 v7, 0x401c2ded, v7
	s_delay_alu instid0(VALU_DEP_3) | instskip(NEXT) | instid1(VALU_DEP_3)
	v_mul_f32_e32 v13, 0x37800000, v12
	v_cndmask_b32_e64 v9, 0, v9, s0
	v_cmp_ngt_f32_e64 s0, 0xc2b17218, v6
	s_delay_alu instid0(VALU_DEP_4) | instskip(NEXT) | instid1(VALU_DEP_2)
	v_sub_f32_e32 v7, v7, v10
	v_cndmask_b32_e64 v6, 0x7f800000, v9, s0
	v_cndmask_b32_e32 v9, v12, v13, vcc_lo
	s_delay_alu instid0(VALU_DEP_3) | instskip(SKIP_1) | instid1(VALU_DEP_2)
	v_mul_f32_e32 v7, 0.5, v7
	v_cmp_class_f32_e64 vcc_lo, v11, 0x260
	v_mul_f32_e32 v6, v6, v7
	s_delay_alu instid0(VALU_DEP_4) | instskip(NEXT) | instid1(VALU_DEP_1)
	v_cndmask_b32_e32 v9, v9, v11, vcc_lo
	v_div_scale_f32 v7, null, v9, v9, v6
	s_delay_alu instid0(VALU_DEP_1) | instskip(SKIP_2) | instid1(VALU_DEP_1)
	v_rcp_f32_e32 v10, v7
	s_waitcnt_depctr 0xfff
	v_fma_f32 v11, -v7, v10, 1.0
	v_fmac_f32_e32 v10, v11, v10
	v_div_scale_f32 v11, vcc_lo, v6, v9, v6
	s_delay_alu instid0(VALU_DEP_1) | instskip(NEXT) | instid1(VALU_DEP_1)
	v_mul_f32_e32 v12, v11, v10
	v_fma_f32 v13, -v7, v12, v11
	s_delay_alu instid0(VALU_DEP_1) | instskip(NEXT) | instid1(VALU_DEP_1)
	v_fmac_f32_e32 v12, v13, v10
	v_fma_f32 v7, -v7, v12, v11
	s_delay_alu instid0(VALU_DEP_1) | instskip(NEXT) | instid1(VALU_DEP_1)
	v_div_fmas_f32 v7, v7, v10, v12
	v_div_fixup_f32 v7, v7, v9, v6
.LBB19_90:
	s_or_b32 exec_lo, exec_lo, s3
.LBB19_91:
	s_delay_alu instid0(SALU_CYCLE_1)
	s_or_b32 exec_lo, exec_lo, s2
.LBB19_92:
	s_delay_alu instid0(SALU_CYCLE_1)
	s_or_b32 exec_lo, exec_lo, s1
	global_load_b32 v9, v5, s[6:7]
	v_dual_mov_b32 v5, 0x7f800000 :: v_dual_mov_b32 v6, 0x7f800000
	s_mov_b32 s1, exec_lo
	s_waitcnt vmcnt(0)
	v_cmpx_neq_f32_e32 0, v9
	s_cbranch_execz .LBB19_104
; %bb.93:
	v_mov_b32_e32 v6, 0x7fc00000
	s_mov_b32 s2, exec_lo
	v_cmpx_ngt_f32_e32 0, v9
	s_cbranch_execz .LBB19_103
; %bb.94:
                                        ; implicit-def: $vgpr6
	s_mov_b32 s0, exec_lo
	v_cmpx_ge_f32_e32 2.0, v9
	s_xor_b32 s3, exec_lo, s0
	s_cbranch_execz .LBB19_100
; %bb.95:
	s_mov_b32 s0, exec_lo
                                        ; implicit-def: $vgpr6
	v_cmpx_ge_f32_e32 0x41000000, v9
	s_xor_b32 s0, exec_lo, s0
	s_cbranch_execz .LBB19_97
; %bb.96:
	v_fma_f32 v6, v9, 0.5, -2.0
	s_mov_b32 s8, 0xa2a2e5b9
	v_mul_f32_e32 v12, 0x3fb8aa3b, v9
	v_cmp_ngt_f32_e32 vcc_lo, 0xc2ce8ed0, v9
	s_delay_alu instid0(VALU_DEP_3) | instskip(NEXT) | instid1(VALU_DEP_3)
	v_fmaak_f32 v10, s8, v6, 0x24199b15
	v_rndne_f32_e32 v13, v12
	v_fma_f32 v14, 0x3fb8aa3b, v9, -v12
	s_delay_alu instid0(VALU_DEP_2) | instskip(NEXT) | instid1(VALU_DEP_2)
	v_dual_fmaak_f32 v11, v6, v10, 0x22a2e5b9 :: v_dual_sub_f32 v12, v12, v13
	v_fmamk_f32 v14, v9, 0x32a5705f, v14
	v_cvt_i32_f32_e32 v13, v13
	s_delay_alu instid0(VALU_DEP_2) | instskip(NEXT) | instid1(VALU_DEP_1)
	v_dual_add_f32 v11, 0xa58c275c, v11 :: v_dual_add_f32 v12, v12, v14
	v_fma_f32 v10, v6, v11, -v10
	s_delay_alu instid0(VALU_DEP_2) | instskip(NEXT) | instid1(VALU_DEP_1)
	v_exp_f32_e32 v12, v12
	v_add_f32_e32 v10, 0x26f736c5, v10
	s_delay_alu instid0(VALU_DEP_1) | instskip(NEXT) | instid1(VALU_DEP_1)
	v_fma_f32 v11, v6, v10, -v11
	v_add_f32_e32 v11, 0xa8528116, v11
	s_delay_alu instid0(VALU_DEP_1) | instskip(NEXT) | instid1(VALU_DEP_1)
	v_fma_f32 v10, v6, v11, -v10
	;; [unrolled: 3-line block ×25, first 2 shown]
	v_add_f32_e32 v11, 0xbe9bff5e, v11
	s_delay_alu instid0(VALU_DEP_1) | instskip(SKIP_1) | instid1(VALU_DEP_1)
	v_fma_f32 v6, v6, v11, -v10
	v_ldexp_f32 v11, v12, v13
	v_dual_add_f32 v6, 0x3f2d4275, v6 :: v_dual_cndmask_b32 v11, 0, v11
	v_cmp_nlt_f32_e32 vcc_lo, 0x42b17218, v9
	s_delay_alu instid0(VALU_DEP_2) | instskip(NEXT) | instid1(VALU_DEP_3)
	v_sub_f32_e32 v6, v6, v10
	v_cndmask_b32_e32 v10, 0x7f800000, v11, vcc_lo
	s_delay_alu instid0(VALU_DEP_2) | instskip(NEXT) | instid1(VALU_DEP_1)
	v_mul_f32_e32 v6, 0.5, v6
	v_mul_f32_e32 v6, v10, v6
.LBB19_97:
	s_and_not1_saveexec_b32 s8, s0
	s_cbranch_execz .LBB19_99
; %bb.98:
	v_div_scale_f32 v6, null, v9, v9, 0x42000000
	v_div_scale_f32 v12, vcc_lo, 0x42000000, v9, 0x42000000
	s_mov_b32 s0, 0xa3056dbb
	s_delay_alu instid0(VALU_DEP_2) | instskip(SKIP_2) | instid1(VALU_DEP_1)
	v_rcp_f32_e32 v10, v6
	s_waitcnt_depctr 0xfff
	v_fma_f32 v11, -v6, v10, 1.0
	v_fmac_f32_e32 v10, v11, v10
	s_delay_alu instid0(VALU_DEP_1) | instskip(NEXT) | instid1(VALU_DEP_1)
	v_mul_f32_e32 v11, v12, v10
	v_fma_f32 v13, -v6, v11, v12
	s_delay_alu instid0(VALU_DEP_1) | instskip(SKIP_1) | instid1(VALU_DEP_2)
	v_fmac_f32_e32 v11, v13, v10
	v_mul_f32_e32 v13, 0x3fb8aa3b, v9
	v_fma_f32 v6, -v6, v11, v12
	s_delay_alu instid0(VALU_DEP_2) | instskip(SKIP_2) | instid1(VALU_DEP_4)
	v_rndne_f32_e32 v14, v13
	v_fma_f32 v15, 0x3fb8aa3b, v9, -v13
	v_mul_f32_e32 v12, 0x4f800000, v9
	v_div_fmas_f32 v6, v6, v10, v11
	s_delay_alu instid0(VALU_DEP_4) | instskip(NEXT) | instid1(VALU_DEP_4)
	v_sub_f32_e32 v13, v13, v14
	v_fmamk_f32 v15, v9, 0x32a5705f, v15
	v_cmp_gt_f32_e32 vcc_lo, 0xf800000, v9
	v_cvt_i32_f32_e32 v14, v14
	v_div_fixup_f32 v6, v6, v9, 0x42000000
	s_delay_alu instid0(VALU_DEP_4) | instskip(SKIP_1) | instid1(VALU_DEP_3)
	v_add_f32_e32 v13, v13, v15
	v_cndmask_b32_e32 v12, v9, v12, vcc_lo
	v_add_f32_e32 v6, -2.0, v6
	s_delay_alu instid0(VALU_DEP_3) | instskip(NEXT) | instid1(VALU_DEP_2)
	v_exp_f32_e32 v13, v13
	v_sqrt_f32_e32 v16, v12
	s_delay_alu instid0(VALU_DEP_1) | instskip(NEXT) | instid1(VALU_DEP_1)
	v_fmaak_f32 v10, s0, v6, 0xa2b236d3
	v_fmaak_f32 v11, v6, v10, 0x23056dbb
	s_waitcnt_depctr 0xfff
	v_add_nc_u32_e32 v15, -1, v16
	v_add_nc_u32_e32 v17, 1, v16
	v_add_f32_e32 v11, 0x244df0c1, v11
	s_delay_alu instid0(VALU_DEP_3) | instskip(NEXT) | instid1(VALU_DEP_3)
	v_fma_f32 v18, -v15, v16, v12
	v_fma_f32 v19, -v17, v16, v12
	s_delay_alu instid0(VALU_DEP_3) | instskip(NEXT) | instid1(VALU_DEP_3)
	v_fma_f32 v10, v6, v11, -v10
	v_cmp_ge_f32_e64 s0, 0, v18
	s_delay_alu instid0(VALU_DEP_2) | instskip(NEXT) | instid1(VALU_DEP_2)
	v_add_f32_e32 v10, 0x241f9ee8, v10
	v_cndmask_b32_e64 v15, v16, v15, s0
	v_cmp_lt_f32_e64 s0, 0, v19
	s_delay_alu instid0(VALU_DEP_3) | instskip(NEXT) | instid1(VALU_DEP_1)
	v_fma_f32 v11, v6, v10, -v11
	v_add_f32_e32 v11, 0xa5a3005d, v11
	s_delay_alu instid0(VALU_DEP_1) | instskip(NEXT) | instid1(VALU_DEP_1)
	v_fma_f32 v10, v6, v11, -v10
	v_add_f32_e32 v10, 0xa5c5773f, v10
	s_delay_alu instid0(VALU_DEP_1) | instskip(NEXT) | instid1(VALU_DEP_1)
	;; [unrolled: 3-line block ×19, first 2 shown]
	v_fma_f32 v10, v6, v11, -v10
	v_add_f32_e32 v10, 0x3b5ccc65, v10
	s_delay_alu instid0(VALU_DEP_1) | instskip(SKIP_3) | instid1(VALU_DEP_4)
	v_fma_f32 v6, v6, v10, -v11
	v_ldexp_f32 v10, v13, v14
	v_cndmask_b32_e64 v13, v15, v17, s0
	v_cmp_ngt_f32_e64 s0, 0xc2ce8ed0, v9
	v_add_f32_e32 v6, 0x3f4df315, v6
	s_delay_alu instid0(VALU_DEP_3) | instskip(NEXT) | instid1(VALU_DEP_3)
	v_mul_f32_e32 v14, 0x37800000, v13
	v_cndmask_b32_e64 v10, 0, v10, s0
	v_cmp_nlt_f32_e64 s0, 0x42b17218, v9
	s_delay_alu instid0(VALU_DEP_3) | instskip(SKIP_1) | instid1(VALU_DEP_3)
	v_dual_sub_f32 v6, v6, v11 :: v_dual_cndmask_b32 v11, v13, v14
	v_cmp_class_f32_e64 vcc_lo, v12, 0x260
	v_cndmask_b32_e64 v10, 0x7f800000, v10, s0
	s_delay_alu instid0(VALU_DEP_3) | instskip(NEXT) | instid1(VALU_DEP_1)
	v_dual_mul_f32 v6, 0.5, v6 :: v_dual_cndmask_b32 v11, v11, v12
	v_mul_f32_e32 v6, v10, v6
	s_delay_alu instid0(VALU_DEP_1) | instskip(NEXT) | instid1(VALU_DEP_1)
	v_div_scale_f32 v10, null, v11, v11, v6
	v_rcp_f32_e32 v12, v10
	s_waitcnt_depctr 0xfff
	v_fma_f32 v13, -v10, v12, 1.0
	s_delay_alu instid0(VALU_DEP_1) | instskip(SKIP_1) | instid1(VALU_DEP_1)
	v_fmac_f32_e32 v12, v13, v12
	v_div_scale_f32 v13, vcc_lo, v6, v11, v6
	v_mul_f32_e32 v14, v13, v12
	s_delay_alu instid0(VALU_DEP_1) | instskip(NEXT) | instid1(VALU_DEP_1)
	v_fma_f32 v15, -v10, v14, v13
	v_fmac_f32_e32 v14, v15, v12
	s_delay_alu instid0(VALU_DEP_1) | instskip(NEXT) | instid1(VALU_DEP_1)
	v_fma_f32 v10, -v10, v14, v13
	v_div_fmas_f32 v10, v10, v12, v14
	s_delay_alu instid0(VALU_DEP_1)
	v_div_fixup_f32 v6, v10, v11, v6
.LBB19_99:
	s_or_b32 exec_lo, exec_lo, s8
	v_cvt_f64_f32_e32 v[10:11], v9
	s_mov_b32 s9, 0x3fe55555
	s_mov_b32 s8, 0x55555555
	v_fma_f32 v9, v9, v9, -2.0
	v_mov_b32_e32 v14, 0
	s_mov_b32 s10, 0x6b47b09a
	s_mov_b32 s12, 0xbf559e2b
	;; [unrolled: 1-line block ×5, first 2 shown]
	s_delay_alu instid0(VALU_DEP_3) | instskip(NEXT) | instid1(VALU_DEP_1)
	v_mul_f64 v[10:11], v[10:11], 0.5
	v_frexp_mant_f64_e32 v[12:13], v[10:11]
	s_delay_alu instid0(VALU_DEP_1) | instskip(SKIP_2) | instid1(VALU_DEP_1)
	v_cmp_gt_f64_e32 vcc_lo, s[8:9], v[12:13]
	s_mov_b32 s8, 0x55555780
	v_cndmask_b32_e64 v15, 0x3ff00000, 2.0, vcc_lo
	v_mul_f64 v[12:13], v[12:13], v[14:15]
	s_delay_alu instid0(VALU_DEP_1) | instskip(SKIP_1) | instid1(VALU_DEP_2)
	v_add_f64 v[14:15], v[12:13], 1.0
	v_add_f64 v[20:21], v[12:13], -1.0
	v_rcp_f64_e32 v[16:17], v[14:15]
	v_add_f64 v[22:23], v[14:15], -1.0
	s_delay_alu instid0(VALU_DEP_1) | instskip(SKIP_2) | instid1(VALU_DEP_1)
	v_add_f64 v[12:13], v[12:13], -v[22:23]
	s_waitcnt_depctr 0xfff
	v_fma_f64 v[18:19], -v[14:15], v[16:17], 1.0
	v_fma_f64 v[16:17], v[18:19], v[16:17], v[16:17]
	s_delay_alu instid0(VALU_DEP_1) | instskip(NEXT) | instid1(VALU_DEP_1)
	v_fma_f64 v[18:19], -v[14:15], v[16:17], 1.0
	v_fma_f64 v[16:17], v[18:19], v[16:17], v[16:17]
	s_delay_alu instid0(VALU_DEP_1) | instskip(NEXT) | instid1(VALU_DEP_1)
	v_mul_f64 v[18:19], v[20:21], v[16:17]
	v_mul_f64 v[24:25], v[14:15], v[18:19]
	s_delay_alu instid0(VALU_DEP_1) | instskip(NEXT) | instid1(VALU_DEP_1)
	v_fma_f64 v[14:15], v[18:19], v[14:15], -v[24:25]
	v_fma_f64 v[12:13], v[18:19], v[12:13], v[14:15]
	s_delay_alu instid0(VALU_DEP_1) | instskip(NEXT) | instid1(VALU_DEP_1)
	v_add_f64 v[14:15], v[24:25], v[12:13]
	v_add_f64 v[22:23], v[20:21], -v[14:15]
	v_add_f64 v[24:25], v[14:15], -v[24:25]
	s_delay_alu instid0(VALU_DEP_2) | instskip(NEXT) | instid1(VALU_DEP_2)
	v_add_f64 v[20:21], v[20:21], -v[22:23]
	v_add_f64 v[12:13], v[24:25], -v[12:13]
	v_frexp_exp_i32_f64_e32 v24, v[10:11]
	s_delay_alu instid0(VALU_DEP_3) | instskip(NEXT) | instid1(VALU_DEP_1)
	v_add_f64 v[14:15], v[20:21], -v[14:15]
	v_add_f64 v[12:13], v[12:13], v[14:15]
	s_delay_alu instid0(VALU_DEP_1) | instskip(NEXT) | instid1(VALU_DEP_1)
	v_add_f64 v[12:13], v[22:23], v[12:13]
	v_mul_f64 v[12:13], v[16:17], v[12:13]
	s_delay_alu instid0(VALU_DEP_1) | instskip(NEXT) | instid1(VALU_DEP_1)
	v_add_f64 v[14:15], v[18:19], v[12:13]
	v_mul_f64 v[16:17], v[14:15], v[14:15]
	s_delay_alu instid0(VALU_DEP_1) | instskip(SKIP_3) | instid1(VALU_DEP_2)
	v_fma_f64 v[20:21], v[16:17], s[12:13], s[10:11]
	s_mov_b32 s10, 0xd7f4df2e
	s_mov_b32 s11, 0x3fc7474d
	v_mul_f64 v[22:23], v[14:15], v[16:17]
	v_fma_f64 v[20:21], v[16:17], v[20:21], s[10:11]
	s_mov_b32 s10, 0x16291751
	s_mov_b32 s11, 0x3fcc71c0
	s_delay_alu instid0(VALU_DEP_1) | instid1(SALU_CYCLE_1)
	v_fma_f64 v[20:21], v[16:17], v[20:21], s[10:11]
	s_mov_b32 s10, 0x9b27acf1
	s_mov_b32 s11, 0x3fd24924
	s_delay_alu instid0(VALU_DEP_1) | instid1(SALU_CYCLE_1)
	;; [unrolled: 4-line block ×3, first 2 shown]
	v_fma_f64 v[20:21], v[16:17], v[20:21], s[10:11]
	s_delay_alu instid0(VALU_DEP_1) | instskip(SKIP_4) | instid1(VALU_DEP_3)
	v_fma_f64 v[16:17], v[16:17], v[20:21], s[8:9]
	v_ldexp_f64 v[20:21], v[14:15], 1
	v_add_f64 v[14:15], v[14:15], -v[18:19]
	s_mov_b32 s8, 0xfefa39ef
	s_mov_b32 s9, 0x3fe62e42
	v_mul_f64 v[16:17], v[22:23], v[16:17]
	v_subrev_co_ci_u32_e32 v22, vcc_lo, 0, v24, vcc_lo
	s_delay_alu instid0(VALU_DEP_3) | instskip(SKIP_1) | instid1(VALU_DEP_3)
	v_add_f64 v[12:13], v[12:13], -v[14:15]
	v_cmp_eq_f64_e32 vcc_lo, 0x7ff00000, v[10:11]
	v_cvt_f64_i32_e32 v[22:23], v22
	v_add_f64 v[18:19], v[20:21], v[16:17]
	s_delay_alu instid0(VALU_DEP_4) | instskip(NEXT) | instid1(VALU_DEP_3)
	v_ldexp_f64 v[12:13], v[12:13], 1
	v_mul_f64 v[24:25], v[22:23], s[8:9]
	s_delay_alu instid0(VALU_DEP_3) | instskip(NEXT) | instid1(VALU_DEP_2)
	v_add_f64 v[14:15], v[18:19], -v[20:21]
	v_fma_f64 v[20:21], v[22:23], s[8:9], -v[24:25]
	s_mov_b32 s8, 0x3b39803f
	s_mov_b32 s9, 0x3c7abc9e
	s_delay_alu instid0(VALU_DEP_2) | instskip(NEXT) | instid1(VALU_DEP_2)
	v_add_f64 v[14:15], v[16:17], -v[14:15]
	v_fma_f64 v[16:17], v[22:23], s[8:9], v[20:21]
	s_delay_alu instid0(VALU_DEP_2) | instskip(NEXT) | instid1(VALU_DEP_2)
	v_add_f64 v[12:13], v[12:13], v[14:15]
	v_add_f64 v[14:15], v[24:25], v[16:17]
	s_delay_alu instid0(VALU_DEP_2) | instskip(NEXT) | instid1(VALU_DEP_2)
	v_add_f64 v[20:21], v[18:19], v[12:13]
	v_add_f64 v[24:25], v[14:15], -v[24:25]
	s_delay_alu instid0(VALU_DEP_2) | instskip(SKIP_1) | instid1(VALU_DEP_3)
	v_add_f64 v[22:23], v[14:15], v[20:21]
	v_add_f64 v[18:19], v[20:21], -v[18:19]
	v_add_f64 v[16:17], v[16:17], -v[24:25]
	s_delay_alu instid0(VALU_DEP_3) | instskip(NEXT) | instid1(VALU_DEP_3)
	v_add_f64 v[26:27], v[22:23], -v[14:15]
	v_add_f64 v[12:13], v[12:13], -v[18:19]
	s_delay_alu instid0(VALU_DEP_2) | instskip(SKIP_1) | instid1(VALU_DEP_3)
	v_add_f64 v[28:29], v[22:23], -v[26:27]
	v_add_f64 v[18:19], v[20:21], -v[26:27]
	v_add_f64 v[20:21], v[16:17], v[12:13]
	s_delay_alu instid0(VALU_DEP_3) | instskip(NEXT) | instid1(VALU_DEP_1)
	v_add_f64 v[14:15], v[14:15], -v[28:29]
	v_add_f64 v[14:15], v[18:19], v[14:15]
	s_delay_alu instid0(VALU_DEP_3) | instskip(NEXT) | instid1(VALU_DEP_2)
	v_add_f64 v[18:19], v[20:21], -v[16:17]
	v_add_f64 v[14:15], v[20:21], v[14:15]
	s_delay_alu instid0(VALU_DEP_2) | instskip(SKIP_1) | instid1(VALU_DEP_3)
	v_add_f64 v[20:21], v[20:21], -v[18:19]
	v_add_f64 v[12:13], v[12:13], -v[18:19]
	v_add_f64 v[24:25], v[22:23], v[14:15]
	s_delay_alu instid0(VALU_DEP_3) | instskip(NEXT) | instid1(VALU_DEP_2)
	v_add_f64 v[16:17], v[16:17], -v[20:21]
	v_add_f64 v[18:19], v[24:25], -v[22:23]
	s_delay_alu instid0(VALU_DEP_2) | instskip(SKIP_1) | instid1(VALU_DEP_1)
	v_add_f64 v[12:13], v[12:13], v[16:17]
	v_fmaak_f32 v16, s0, v9, 0x293fd856
	v_fmaak_f32 v17, v9, v16, 0xa51e770f
	s_delay_alu instid0(VALU_DEP_1) | instskip(SKIP_1) | instid1(VALU_DEP_1)
	v_add_f32_e32 v17, 0x2d3612e2, v17
	v_add_f64 v[14:15], v[14:15], -v[18:19]
	v_add_f64 v[12:13], v[12:13], v[14:15]
	s_delay_alu instid0(VALU_DEP_3) | instskip(NEXT) | instid1(VALU_DEP_1)
	v_fma_f32 v14, v9, v17, -v16
	v_add_f32_e32 v14, 0x3102e09b, v14
	s_delay_alu instid0(VALU_DEP_1) | instskip(NEXT) | instid1(VALU_DEP_1)
	v_fma_f32 v15, v9, v14, -v17
	v_add_f32_e32 v15, 0x348815e7, v15
	s_delay_alu instid0(VALU_DEP_1) | instskip(SKIP_1) | instid1(VALU_DEP_1)
	v_fma_f32 v14, v9, v15, -v14
	v_add_f64 v[12:13], v[24:25], v[12:13]
	v_dual_add_f32 v14, 0x37bfc808, v14 :: v_dual_cndmask_b32 v13, v13, v11
	s_delay_alu instid0(VALU_DEP_1) | instskip(NEXT) | instid1(VALU_DEP_1)
	v_fma_f32 v15, v9, v14, -v15
	v_add_f32_e32 v15, 0x3aa5c174, v15
	s_delay_alu instid0(VALU_DEP_1) | instskip(NEXT) | instid1(VALU_DEP_1)
	v_fma_f32 v14, v9, v15, -v14
	v_add_f32_e32 v14, 0x3d135fb3, v14
	;; [unrolled: 3-line block ×3, first 2 shown]
	s_delay_alu instid0(VALU_DEP_1) | instskip(SKIP_3) | instid1(VALU_DEP_4)
	v_fma_f32 v9, v9, v15, -v14
	v_cndmask_b32_e32 v15, v12, v10, vcc_lo
	v_cmp_neq_f64_e32 vcc_lo, 0, v[10:11]
	v_cvt_f64_f32_e32 v[11:12], v6
	v_add_f32_e32 v9, 0xbf090b37, v9
	s_delay_alu instid0(VALU_DEP_1) | instskip(NEXT) | instid1(VALU_DEP_1)
	v_sub_f32_e32 v9, v9, v14
	v_mul_f32_e32 v9, 0.5, v9
	s_delay_alu instid0(VALU_DEP_1) | instskip(SKIP_2) | instid1(VALU_DEP_1)
	v_cvt_f64_f32_e32 v[9:10], v9
	v_cndmask_b32_e32 v14, 0xfff00000, v13, vcc_lo
	v_cndmask_b32_e32 v13, 0, v15, vcc_lo
	v_fma_f64 v[9:10], -v[13:14], v[11:12], v[9:10]
	s_delay_alu instid0(VALU_DEP_1)
	v_cvt_f32_f64_e32 v6, v[9:10]
                                        ; implicit-def: $vgpr9
.LBB19_100:
	s_and_not1_saveexec_b32 s3, s3
	s_cbranch_execz .LBB19_102
; %bb.101:
	v_div_scale_f32 v6, null, v9, v9, 0x41000000
	v_div_scale_f32 v12, vcc_lo, 0x41000000, v9, 0x41000000
	s_mov_b32 s0, 0x22c38d2e
	s_delay_alu instid0(VALU_DEP_2) | instskip(SKIP_2) | instid1(VALU_DEP_1)
	v_rcp_f32_e32 v10, v6
	s_waitcnt_depctr 0xfff
	v_fma_f32 v11, -v6, v10, 1.0
	v_fmac_f32_e32 v10, v11, v10
	s_delay_alu instid0(VALU_DEP_1) | instskip(NEXT) | instid1(VALU_DEP_1)
	v_mul_f32_e32 v11, v12, v10
	v_fma_f32 v13, -v6, v11, v12
	s_delay_alu instid0(VALU_DEP_1) | instskip(SKIP_1) | instid1(VALU_DEP_2)
	v_fmac_f32_e32 v11, v13, v10
	v_mul_f32_e32 v13, 0xbfb8aa3b, v9
	v_fma_f32 v6, -v6, v11, v12
	s_delay_alu instid0(VALU_DEP_2) | instskip(SKIP_2) | instid1(VALU_DEP_4)
	v_rndne_f32_e32 v14, v13
	v_fma_f32 v15, 0xbfb8aa3b, v9, -v13
	v_mul_f32_e32 v12, 0x4f800000, v9
	v_div_fmas_f32 v6, v6, v10, v11
	s_delay_alu instid0(VALU_DEP_4) | instskip(NEXT) | instid1(VALU_DEP_4)
	v_sub_f32_e32 v13, v13, v14
	v_fmamk_f32 v15, v9, 0xb2a5705f, v15
	v_cmp_gt_f32_e32 vcc_lo, 0xf800000, v9
	v_cvt_i32_f32_e32 v14, v14
	v_div_fixup_f32 v6, v6, v9, 0x41000000
	s_delay_alu instid0(VALU_DEP_4) | instskip(SKIP_1) | instid1(VALU_DEP_3)
	v_add_f32_e32 v13, v13, v15
	v_cndmask_b32_e32 v12, v9, v12, vcc_lo
	v_add_f32_e32 v6, -2.0, v6
	s_delay_alu instid0(VALU_DEP_3) | instskip(NEXT) | instid1(VALU_DEP_2)
	v_exp_f32_e32 v13, v13
	v_sqrt_f32_e32 v16, v12
	s_delay_alu instid0(VALU_DEP_1) | instskip(NEXT) | instid1(VALU_DEP_1)
	v_fmaak_f32 v10, s0, v6, 0xa397f665
	v_fmaak_f32 v11, v6, v10, 0xa2c38d2e
	s_waitcnt_depctr 0xfff
	v_add_nc_u32_e32 v15, -1, v16
	v_add_nc_u32_e32 v17, 1, v16
	v_add_f32_e32 v11, 0x24704972, v11
	s_delay_alu instid0(VALU_DEP_3) | instskip(NEXT) | instid1(VALU_DEP_3)
	v_fma_f32 v18, -v15, v16, v12
	v_fma_f32 v19, -v17, v16, v12
	s_delay_alu instid0(VALU_DEP_3) | instskip(NEXT) | instid1(VALU_DEP_3)
	v_fma_f32 v10, v6, v11, -v10
	v_cmp_ge_f32_e64 s0, 0, v18
	s_delay_alu instid0(VALU_DEP_2) | instskip(NEXT) | instid1(VALU_DEP_2)
	v_add_f32_e32 v10, 0xa5417ca4, v10
	v_cndmask_b32_e64 v15, v16, v15, s0
	v_cmp_lt_f32_e64 s0, 0, v19
	s_delay_alu instid0(VALU_DEP_3) | instskip(NEXT) | instid1(VALU_DEP_1)
	v_fma_f32 v11, v6, v10, -v11
	v_add_f32_e32 v11, 0x261edfcb, v11
	s_delay_alu instid0(VALU_DEP_1) | instskip(NEXT) | instid1(VALU_DEP_1)
	v_fma_f32 v10, v6, v11, -v10
	v_add_f32_e32 v10, 0xa7053487, v10
	s_delay_alu instid0(VALU_DEP_1) | instskip(NEXT) | instid1(VALU_DEP_1)
	;; [unrolled: 3-line block ×19, first 2 shown]
	v_fma_f32 v10, v6, v11, -v10
	v_add_f32_e32 v10, 0xbd00cfb9, v10
	s_delay_alu instid0(VALU_DEP_1) | instskip(SKIP_3) | instid1(VALU_DEP_4)
	v_fma_f32 v6, v6, v10, -v11
	v_ldexp_f32 v10, v13, v14
	v_cndmask_b32_e64 v13, v15, v17, s0
	v_cmp_nlt_f32_e64 s0, 0x42ce8ed0, v9
	v_add_f32_e32 v6, 0x401c2ded, v6
	s_delay_alu instid0(VALU_DEP_3) | instskip(NEXT) | instid1(VALU_DEP_3)
	v_mul_f32_e32 v14, 0x37800000, v13
	v_cndmask_b32_e64 v10, 0, v10, s0
	v_cmp_ngt_f32_e64 s0, 0xc2b17218, v9
	s_delay_alu instid0(VALU_DEP_4) | instskip(NEXT) | instid1(VALU_DEP_2)
	v_sub_f32_e32 v6, v6, v11
	v_cndmask_b32_e64 v9, 0x7f800000, v10, s0
	v_cndmask_b32_e32 v10, v13, v14, vcc_lo
	s_delay_alu instid0(VALU_DEP_3) | instskip(SKIP_1) | instid1(VALU_DEP_2)
	v_mul_f32_e32 v6, 0.5, v6
	v_cmp_class_f32_e64 vcc_lo, v12, 0x260
	v_mul_f32_e32 v6, v9, v6
	s_delay_alu instid0(VALU_DEP_4) | instskip(NEXT) | instid1(VALU_DEP_1)
	v_cndmask_b32_e32 v10, v10, v12, vcc_lo
	v_div_scale_f32 v9, null, v10, v10, v6
	s_delay_alu instid0(VALU_DEP_1) | instskip(SKIP_2) | instid1(VALU_DEP_1)
	v_rcp_f32_e32 v11, v9
	s_waitcnt_depctr 0xfff
	v_fma_f32 v12, -v9, v11, 1.0
	v_fmac_f32_e32 v11, v12, v11
	v_div_scale_f32 v12, vcc_lo, v6, v10, v6
	s_delay_alu instid0(VALU_DEP_1) | instskip(NEXT) | instid1(VALU_DEP_1)
	v_mul_f32_e32 v13, v12, v11
	v_fma_f32 v14, -v9, v13, v12
	s_delay_alu instid0(VALU_DEP_1) | instskip(NEXT) | instid1(VALU_DEP_1)
	v_fmac_f32_e32 v13, v14, v11
	v_fma_f32 v9, -v9, v13, v12
	s_delay_alu instid0(VALU_DEP_1) | instskip(NEXT) | instid1(VALU_DEP_1)
	v_div_fmas_f32 v9, v9, v11, v13
	v_div_fixup_f32 v6, v9, v10, v6
.LBB19_102:
	s_or_b32 exec_lo, exec_lo, s3
.LBB19_103:
	s_delay_alu instid0(SALU_CYCLE_1)
	s_or_b32 exec_lo, exec_lo, s2
.LBB19_104:
	s_delay_alu instid0(SALU_CYCLE_1)
	s_or_b32 exec_lo, exec_lo, s1
	global_load_b32 v4, v4, s[6:7]
	s_mov_b32 s1, exec_lo
	s_waitcnt vmcnt(0)
	v_cmpx_neq_f32_e32 0, v4
	s_cbranch_execz .LBB19_116
; %bb.105:
	v_mov_b32_e32 v5, 0x7fc00000
	s_mov_b32 s2, exec_lo
	v_cmpx_ngt_f32_e32 0, v4
	s_cbranch_execz .LBB19_115
; %bb.106:
                                        ; implicit-def: $vgpr5
	s_mov_b32 s0, exec_lo
	v_cmpx_ge_f32_e32 2.0, v4
	s_xor_b32 s3, exec_lo, s0
	s_cbranch_execz .LBB19_112
; %bb.107:
	s_mov_b32 s0, exec_lo
                                        ; implicit-def: $vgpr5
	v_cmpx_ge_f32_e32 0x41000000, v4
	s_xor_b32 s0, exec_lo, s0
	s_cbranch_execz .LBB19_109
; %bb.108:
	v_fma_f32 v5, v4, 0.5, -2.0
	s_mov_b32 s6, 0xa2a2e5b9
	v_mul_f32_e32 v11, 0x3fb8aa3b, v4
	v_cmp_ngt_f32_e32 vcc_lo, 0xc2ce8ed0, v4
	s_delay_alu instid0(VALU_DEP_3) | instskip(NEXT) | instid1(VALU_DEP_3)
	v_fmaak_f32 v9, s6, v5, 0x24199b15
	v_rndne_f32_e32 v12, v11
	v_fma_f32 v13, 0x3fb8aa3b, v4, -v11
	s_delay_alu instid0(VALU_DEP_2) | instskip(NEXT) | instid1(VALU_DEP_2)
	v_dual_fmaak_f32 v10, v5, v9, 0x22a2e5b9 :: v_dual_sub_f32 v11, v11, v12
	v_fmamk_f32 v13, v4, 0x32a5705f, v13
	v_cvt_i32_f32_e32 v12, v12
	s_delay_alu instid0(VALU_DEP_2) | instskip(NEXT) | instid1(VALU_DEP_1)
	v_dual_add_f32 v10, 0xa58c275c, v10 :: v_dual_add_f32 v11, v11, v13
	v_fma_f32 v9, v5, v10, -v9
	s_delay_alu instid0(VALU_DEP_2) | instskip(NEXT) | instid1(VALU_DEP_1)
	v_exp_f32_e32 v11, v11
	v_add_f32_e32 v9, 0x26f736c5, v9
	s_delay_alu instid0(VALU_DEP_1) | instskip(NEXT) | instid1(VALU_DEP_1)
	v_fma_f32 v10, v5, v9, -v10
	v_add_f32_e32 v10, 0xa8528116, v10
	s_delay_alu instid0(VALU_DEP_1) | instskip(NEXT) | instid1(VALU_DEP_1)
	v_fma_f32 v9, v5, v10, -v9
	;; [unrolled: 3-line block ×25, first 2 shown]
	v_add_f32_e32 v10, 0xbe9bff5e, v10
	s_delay_alu instid0(VALU_DEP_1) | instskip(SKIP_1) | instid1(VALU_DEP_1)
	v_fma_f32 v5, v5, v10, -v9
	v_ldexp_f32 v10, v11, v12
	v_dual_add_f32 v5, 0x3f2d4275, v5 :: v_dual_cndmask_b32 v10, 0, v10
	v_cmp_nlt_f32_e32 vcc_lo, 0x42b17218, v4
	s_delay_alu instid0(VALU_DEP_2) | instskip(NEXT) | instid1(VALU_DEP_3)
	v_sub_f32_e32 v5, v5, v9
	v_cndmask_b32_e32 v9, 0x7f800000, v10, vcc_lo
	s_delay_alu instid0(VALU_DEP_2) | instskip(NEXT) | instid1(VALU_DEP_1)
	v_mul_f32_e32 v5, 0.5, v5
	v_mul_f32_e32 v5, v9, v5
.LBB19_109:
	s_and_not1_saveexec_b32 s6, s0
	s_cbranch_execz .LBB19_111
; %bb.110:
	v_div_scale_f32 v5, null, v4, v4, 0x42000000
	v_div_scale_f32 v11, vcc_lo, 0x42000000, v4, 0x42000000
	s_mov_b32 s0, 0xa3056dbb
	s_delay_alu instid0(VALU_DEP_2) | instskip(SKIP_2) | instid1(VALU_DEP_1)
	v_rcp_f32_e32 v9, v5
	s_waitcnt_depctr 0xfff
	v_fma_f32 v10, -v5, v9, 1.0
	v_fmac_f32_e32 v9, v10, v9
	s_delay_alu instid0(VALU_DEP_1) | instskip(NEXT) | instid1(VALU_DEP_1)
	v_mul_f32_e32 v10, v11, v9
	v_fma_f32 v12, -v5, v10, v11
	s_delay_alu instid0(VALU_DEP_1) | instskip(SKIP_1) | instid1(VALU_DEP_2)
	v_fmac_f32_e32 v10, v12, v9
	v_mul_f32_e32 v12, 0x3fb8aa3b, v4
	v_fma_f32 v5, -v5, v10, v11
	s_delay_alu instid0(VALU_DEP_2) | instskip(SKIP_2) | instid1(VALU_DEP_4)
	v_rndne_f32_e32 v13, v12
	v_fma_f32 v14, 0x3fb8aa3b, v4, -v12
	v_mul_f32_e32 v11, 0x4f800000, v4
	v_div_fmas_f32 v5, v5, v9, v10
	s_delay_alu instid0(VALU_DEP_4) | instskip(NEXT) | instid1(VALU_DEP_4)
	v_sub_f32_e32 v12, v12, v13
	v_fmamk_f32 v14, v4, 0x32a5705f, v14
	v_cmp_gt_f32_e32 vcc_lo, 0xf800000, v4
	v_cvt_i32_f32_e32 v13, v13
	v_div_fixup_f32 v5, v5, v4, 0x42000000
	s_delay_alu instid0(VALU_DEP_4) | instskip(SKIP_1) | instid1(VALU_DEP_3)
	v_add_f32_e32 v12, v12, v14
	v_cndmask_b32_e32 v11, v4, v11, vcc_lo
	v_add_f32_e32 v5, -2.0, v5
	s_delay_alu instid0(VALU_DEP_3) | instskip(NEXT) | instid1(VALU_DEP_2)
	v_exp_f32_e32 v12, v12
	v_sqrt_f32_e32 v15, v11
	s_delay_alu instid0(VALU_DEP_1) | instskip(NEXT) | instid1(VALU_DEP_1)
	v_fmaak_f32 v9, s0, v5, 0xa2b236d3
	v_fmaak_f32 v10, v5, v9, 0x23056dbb
	s_waitcnt_depctr 0xfff
	v_add_nc_u32_e32 v14, -1, v15
	v_add_nc_u32_e32 v16, 1, v15
	v_add_f32_e32 v10, 0x244df0c1, v10
	s_delay_alu instid0(VALU_DEP_3) | instskip(NEXT) | instid1(VALU_DEP_3)
	v_fma_f32 v17, -v14, v15, v11
	v_fma_f32 v18, -v16, v15, v11
	s_delay_alu instid0(VALU_DEP_3) | instskip(NEXT) | instid1(VALU_DEP_3)
	v_fma_f32 v9, v5, v10, -v9
	v_cmp_ge_f32_e64 s0, 0, v17
	s_delay_alu instid0(VALU_DEP_2) | instskip(NEXT) | instid1(VALU_DEP_2)
	v_add_f32_e32 v9, 0x241f9ee8, v9
	v_cndmask_b32_e64 v14, v15, v14, s0
	v_cmp_lt_f32_e64 s0, 0, v18
	s_delay_alu instid0(VALU_DEP_3) | instskip(NEXT) | instid1(VALU_DEP_1)
	v_fma_f32 v10, v5, v9, -v10
	v_add_f32_e32 v10, 0xa5a3005d, v10
	s_delay_alu instid0(VALU_DEP_1) | instskip(NEXT) | instid1(VALU_DEP_1)
	v_fma_f32 v9, v5, v10, -v9
	v_add_f32_e32 v9, 0xa5c5773f, v9
	s_delay_alu instid0(VALU_DEP_1) | instskip(NEXT) | instid1(VALU_DEP_1)
	;; [unrolled: 3-line block ×19, first 2 shown]
	v_fma_f32 v9, v5, v10, -v9
	v_add_f32_e32 v9, 0x3b5ccc65, v9
	s_delay_alu instid0(VALU_DEP_1) | instskip(SKIP_3) | instid1(VALU_DEP_4)
	v_fma_f32 v5, v5, v9, -v10
	v_ldexp_f32 v9, v12, v13
	v_cndmask_b32_e64 v12, v14, v16, s0
	v_cmp_ngt_f32_e64 s0, 0xc2ce8ed0, v4
	v_add_f32_e32 v5, 0x3f4df315, v5
	s_delay_alu instid0(VALU_DEP_3) | instskip(NEXT) | instid1(VALU_DEP_3)
	v_mul_f32_e32 v13, 0x37800000, v12
	v_cndmask_b32_e64 v9, 0, v9, s0
	v_cmp_nlt_f32_e64 s0, 0x42b17218, v4
	s_delay_alu instid0(VALU_DEP_3) | instskip(SKIP_1) | instid1(VALU_DEP_3)
	v_dual_sub_f32 v5, v5, v10 :: v_dual_cndmask_b32 v10, v12, v13
	v_cmp_class_f32_e64 vcc_lo, v11, 0x260
	v_cndmask_b32_e64 v9, 0x7f800000, v9, s0
	s_delay_alu instid0(VALU_DEP_3) | instskip(NEXT) | instid1(VALU_DEP_1)
	v_dual_mul_f32 v5, 0.5, v5 :: v_dual_cndmask_b32 v10, v10, v11
	v_mul_f32_e32 v5, v9, v5
	s_delay_alu instid0(VALU_DEP_1) | instskip(NEXT) | instid1(VALU_DEP_1)
	v_div_scale_f32 v9, null, v10, v10, v5
	v_rcp_f32_e32 v11, v9
	s_waitcnt_depctr 0xfff
	v_fma_f32 v12, -v9, v11, 1.0
	s_delay_alu instid0(VALU_DEP_1) | instskip(SKIP_1) | instid1(VALU_DEP_1)
	v_fmac_f32_e32 v11, v12, v11
	v_div_scale_f32 v12, vcc_lo, v5, v10, v5
	v_mul_f32_e32 v13, v12, v11
	s_delay_alu instid0(VALU_DEP_1) | instskip(NEXT) | instid1(VALU_DEP_1)
	v_fma_f32 v14, -v9, v13, v12
	v_fmac_f32_e32 v13, v14, v11
	s_delay_alu instid0(VALU_DEP_1) | instskip(NEXT) | instid1(VALU_DEP_1)
	v_fma_f32 v9, -v9, v13, v12
	v_div_fmas_f32 v9, v9, v11, v13
	s_delay_alu instid0(VALU_DEP_1)
	v_div_fixup_f32 v5, v9, v10, v5
.LBB19_111:
	s_or_b32 exec_lo, exec_lo, s6
	v_cvt_f64_f32_e32 v[9:10], v4
	s_mov_b32 s7, 0x3fe55555
	s_mov_b32 s6, 0x55555555
	v_fma_f32 v4, v4, v4, -2.0
	v_mov_b32_e32 v13, 0
	s_mov_b32 s8, 0x6b47b09a
	s_mov_b32 s10, 0xbf559e2b
	;; [unrolled: 1-line block ×5, first 2 shown]
	s_delay_alu instid0(VALU_DEP_3) | instskip(NEXT) | instid1(VALU_DEP_1)
	v_mul_f64 v[9:10], v[9:10], 0.5
	v_frexp_mant_f64_e32 v[11:12], v[9:10]
	s_delay_alu instid0(VALU_DEP_1) | instskip(SKIP_2) | instid1(VALU_DEP_1)
	v_cmp_gt_f64_e32 vcc_lo, s[6:7], v[11:12]
	s_mov_b32 s6, 0x55555780
	v_cndmask_b32_e64 v14, 0x3ff00000, 2.0, vcc_lo
	v_mul_f64 v[11:12], v[11:12], v[13:14]
	s_delay_alu instid0(VALU_DEP_1) | instskip(SKIP_1) | instid1(VALU_DEP_2)
	v_add_f64 v[13:14], v[11:12], 1.0
	v_add_f64 v[19:20], v[11:12], -1.0
	v_rcp_f64_e32 v[15:16], v[13:14]
	v_add_f64 v[21:22], v[13:14], -1.0
	s_delay_alu instid0(VALU_DEP_1) | instskip(SKIP_2) | instid1(VALU_DEP_1)
	v_add_f64 v[11:12], v[11:12], -v[21:22]
	s_waitcnt_depctr 0xfff
	v_fma_f64 v[17:18], -v[13:14], v[15:16], 1.0
	v_fma_f64 v[15:16], v[17:18], v[15:16], v[15:16]
	s_delay_alu instid0(VALU_DEP_1) | instskip(NEXT) | instid1(VALU_DEP_1)
	v_fma_f64 v[17:18], -v[13:14], v[15:16], 1.0
	v_fma_f64 v[15:16], v[17:18], v[15:16], v[15:16]
	s_delay_alu instid0(VALU_DEP_1) | instskip(NEXT) | instid1(VALU_DEP_1)
	v_mul_f64 v[17:18], v[19:20], v[15:16]
	v_mul_f64 v[23:24], v[13:14], v[17:18]
	s_delay_alu instid0(VALU_DEP_1) | instskip(NEXT) | instid1(VALU_DEP_1)
	v_fma_f64 v[13:14], v[17:18], v[13:14], -v[23:24]
	v_fma_f64 v[11:12], v[17:18], v[11:12], v[13:14]
	s_delay_alu instid0(VALU_DEP_1) | instskip(NEXT) | instid1(VALU_DEP_1)
	v_add_f64 v[13:14], v[23:24], v[11:12]
	v_add_f64 v[21:22], v[19:20], -v[13:14]
	v_add_f64 v[23:24], v[13:14], -v[23:24]
	s_delay_alu instid0(VALU_DEP_2) | instskip(NEXT) | instid1(VALU_DEP_2)
	v_add_f64 v[19:20], v[19:20], -v[21:22]
	v_add_f64 v[11:12], v[23:24], -v[11:12]
	v_frexp_exp_i32_f64_e32 v23, v[9:10]
	s_delay_alu instid0(VALU_DEP_3) | instskip(NEXT) | instid1(VALU_DEP_1)
	v_add_f64 v[13:14], v[19:20], -v[13:14]
	v_add_f64 v[11:12], v[11:12], v[13:14]
	s_delay_alu instid0(VALU_DEP_1) | instskip(NEXT) | instid1(VALU_DEP_1)
	v_add_f64 v[11:12], v[21:22], v[11:12]
	v_mul_f64 v[11:12], v[15:16], v[11:12]
	s_delay_alu instid0(VALU_DEP_1) | instskip(NEXT) | instid1(VALU_DEP_1)
	v_add_f64 v[13:14], v[17:18], v[11:12]
	v_mul_f64 v[15:16], v[13:14], v[13:14]
	s_delay_alu instid0(VALU_DEP_1) | instskip(SKIP_3) | instid1(VALU_DEP_2)
	v_fma_f64 v[19:20], v[15:16], s[10:11], s[8:9]
	s_mov_b32 s8, 0xd7f4df2e
	s_mov_b32 s9, 0x3fc7474d
	v_mul_f64 v[21:22], v[13:14], v[15:16]
	v_fma_f64 v[19:20], v[15:16], v[19:20], s[8:9]
	s_mov_b32 s8, 0x16291751
	s_mov_b32 s9, 0x3fcc71c0
	s_delay_alu instid0(VALU_DEP_1) | instid1(SALU_CYCLE_1)
	v_fma_f64 v[19:20], v[15:16], v[19:20], s[8:9]
	s_mov_b32 s8, 0x9b27acf1
	s_mov_b32 s9, 0x3fd24924
	s_delay_alu instid0(VALU_DEP_1) | instid1(SALU_CYCLE_1)
	;; [unrolled: 4-line block ×3, first 2 shown]
	v_fma_f64 v[19:20], v[15:16], v[19:20], s[8:9]
	s_delay_alu instid0(VALU_DEP_1) | instskip(SKIP_4) | instid1(VALU_DEP_3)
	v_fma_f64 v[15:16], v[15:16], v[19:20], s[6:7]
	v_ldexp_f64 v[19:20], v[13:14], 1
	v_add_f64 v[13:14], v[13:14], -v[17:18]
	s_mov_b32 s6, 0xfefa39ef
	s_mov_b32 s7, 0x3fe62e42
	v_mul_f64 v[15:16], v[21:22], v[15:16]
	v_subrev_co_ci_u32_e32 v21, vcc_lo, 0, v23, vcc_lo
	s_delay_alu instid0(VALU_DEP_3) | instskip(SKIP_1) | instid1(VALU_DEP_3)
	v_add_f64 v[11:12], v[11:12], -v[13:14]
	v_cmp_eq_f64_e32 vcc_lo, 0x7ff00000, v[9:10]
	v_cvt_f64_i32_e32 v[21:22], v21
	v_add_f64 v[17:18], v[19:20], v[15:16]
	s_delay_alu instid0(VALU_DEP_4) | instskip(NEXT) | instid1(VALU_DEP_3)
	v_ldexp_f64 v[11:12], v[11:12], 1
	v_mul_f64 v[23:24], v[21:22], s[6:7]
	s_delay_alu instid0(VALU_DEP_3) | instskip(NEXT) | instid1(VALU_DEP_2)
	v_add_f64 v[13:14], v[17:18], -v[19:20]
	v_fma_f64 v[19:20], v[21:22], s[6:7], -v[23:24]
	s_mov_b32 s6, 0x3b39803f
	s_mov_b32 s7, 0x3c7abc9e
	s_delay_alu instid0(VALU_DEP_2) | instskip(NEXT) | instid1(VALU_DEP_2)
	v_add_f64 v[13:14], v[15:16], -v[13:14]
	v_fma_f64 v[15:16], v[21:22], s[6:7], v[19:20]
	s_delay_alu instid0(VALU_DEP_2) | instskip(NEXT) | instid1(VALU_DEP_2)
	v_add_f64 v[11:12], v[11:12], v[13:14]
	v_add_f64 v[13:14], v[23:24], v[15:16]
	s_delay_alu instid0(VALU_DEP_2) | instskip(NEXT) | instid1(VALU_DEP_2)
	v_add_f64 v[19:20], v[17:18], v[11:12]
	v_add_f64 v[23:24], v[13:14], -v[23:24]
	s_delay_alu instid0(VALU_DEP_2) | instskip(SKIP_1) | instid1(VALU_DEP_3)
	v_add_f64 v[21:22], v[13:14], v[19:20]
	v_add_f64 v[17:18], v[19:20], -v[17:18]
	v_add_f64 v[15:16], v[15:16], -v[23:24]
	s_delay_alu instid0(VALU_DEP_3) | instskip(NEXT) | instid1(VALU_DEP_3)
	v_add_f64 v[25:26], v[21:22], -v[13:14]
	v_add_f64 v[11:12], v[11:12], -v[17:18]
	s_delay_alu instid0(VALU_DEP_2) | instskip(SKIP_1) | instid1(VALU_DEP_3)
	v_add_f64 v[27:28], v[21:22], -v[25:26]
	v_add_f64 v[17:18], v[19:20], -v[25:26]
	v_add_f64 v[19:20], v[15:16], v[11:12]
	s_delay_alu instid0(VALU_DEP_3) | instskip(NEXT) | instid1(VALU_DEP_1)
	v_add_f64 v[13:14], v[13:14], -v[27:28]
	v_add_f64 v[13:14], v[17:18], v[13:14]
	s_delay_alu instid0(VALU_DEP_3) | instskip(NEXT) | instid1(VALU_DEP_2)
	v_add_f64 v[17:18], v[19:20], -v[15:16]
	v_add_f64 v[13:14], v[19:20], v[13:14]
	s_delay_alu instid0(VALU_DEP_2) | instskip(SKIP_1) | instid1(VALU_DEP_3)
	v_add_f64 v[19:20], v[19:20], -v[17:18]
	v_add_f64 v[11:12], v[11:12], -v[17:18]
	v_add_f64 v[23:24], v[21:22], v[13:14]
	s_delay_alu instid0(VALU_DEP_3) | instskip(NEXT) | instid1(VALU_DEP_2)
	v_add_f64 v[15:16], v[15:16], -v[19:20]
	v_add_f64 v[17:18], v[23:24], -v[21:22]
	s_delay_alu instid0(VALU_DEP_2) | instskip(SKIP_1) | instid1(VALU_DEP_1)
	v_add_f64 v[11:12], v[11:12], v[15:16]
	v_fmaak_f32 v15, s0, v4, 0x293fd856
	v_fmaak_f32 v16, v4, v15, 0xa51e770f
	s_delay_alu instid0(VALU_DEP_4) | instskip(NEXT) | instid1(VALU_DEP_1)
	v_add_f64 v[13:14], v[13:14], -v[17:18]
	v_add_f64 v[11:12], v[11:12], v[13:14]
	s_delay_alu instid0(VALU_DEP_1) | instskip(NEXT) | instid1(VALU_DEP_1)
	v_add_f64 v[11:12], v[23:24], v[11:12]
	v_dual_add_f32 v16, 0x2d3612e2, v16 :: v_dual_cndmask_b32 v11, v11, v9
	s_delay_alu instid0(VALU_DEP_2) | instskip(SKIP_1) | instid1(VALU_DEP_3)
	v_cndmask_b32_e32 v12, v12, v10, vcc_lo
	v_cmp_neq_f64_e32 vcc_lo, 0, v[9:10]
	v_fma_f32 v13, v4, v16, -v15
	s_delay_alu instid0(VALU_DEP_1) | instskip(NEXT) | instid1(VALU_DEP_1)
	v_add_f32_e32 v13, 0x3102e09b, v13
	v_fma_f32 v14, v4, v13, -v16
	s_delay_alu instid0(VALU_DEP_1) | instskip(NEXT) | instid1(VALU_DEP_1)
	v_dual_add_f32 v14, 0x348815e7, v14 :: v_dual_cndmask_b32 v11, 0, v11
	v_fma_f32 v13, v4, v14, -v13
	v_cndmask_b32_e32 v12, 0xfff00000, v12, vcc_lo
	s_delay_alu instid0(VALU_DEP_2) | instskip(NEXT) | instid1(VALU_DEP_1)
	v_add_f32_e32 v13, 0x37bfc808, v13
	v_fma_f32 v14, v4, v13, -v14
	s_delay_alu instid0(VALU_DEP_1) | instskip(NEXT) | instid1(VALU_DEP_1)
	v_add_f32_e32 v14, 0x3aa5c174, v14
	v_fma_f32 v13, v4, v14, -v13
	s_delay_alu instid0(VALU_DEP_1) | instskip(NEXT) | instid1(VALU_DEP_1)
	;; [unrolled: 3-line block ×4, first 2 shown]
	v_add_f32_e32 v4, 0xbf090b37, v4
	v_sub_f32_e32 v4, v4, v13
	s_delay_alu instid0(VALU_DEP_1) | instskip(NEXT) | instid1(VALU_DEP_1)
	v_mul_f32_e32 v4, 0.5, v4
	v_cvt_f64_f32_e32 v[9:10], v4
	v_cvt_f64_f32_e32 v[4:5], v5
	s_delay_alu instid0(VALU_DEP_1) | instskip(NEXT) | instid1(VALU_DEP_1)
	v_fma_f64 v[4:5], -v[11:12], v[4:5], v[9:10]
	v_cvt_f32_f64_e32 v5, v[4:5]
                                        ; implicit-def: $vgpr4
.LBB19_112:
	s_and_not1_saveexec_b32 s3, s3
	s_cbranch_execz .LBB19_114
; %bb.113:
	v_div_scale_f32 v5, null, v4, v4, 0x41000000
	v_div_scale_f32 v11, vcc_lo, 0x41000000, v4, 0x41000000
	s_mov_b32 s0, 0x22c38d2e
	s_delay_alu instid0(VALU_DEP_2) | instskip(SKIP_2) | instid1(VALU_DEP_1)
	v_rcp_f32_e32 v9, v5
	s_waitcnt_depctr 0xfff
	v_fma_f32 v10, -v5, v9, 1.0
	v_fmac_f32_e32 v9, v10, v9
	s_delay_alu instid0(VALU_DEP_1) | instskip(NEXT) | instid1(VALU_DEP_1)
	v_mul_f32_e32 v10, v11, v9
	v_fma_f32 v12, -v5, v10, v11
	s_delay_alu instid0(VALU_DEP_1) | instskip(SKIP_1) | instid1(VALU_DEP_2)
	v_fmac_f32_e32 v10, v12, v9
	v_mul_f32_e32 v12, 0xbfb8aa3b, v4
	v_fma_f32 v5, -v5, v10, v11
	s_delay_alu instid0(VALU_DEP_2) | instskip(SKIP_2) | instid1(VALU_DEP_4)
	v_rndne_f32_e32 v13, v12
	v_fma_f32 v14, 0xbfb8aa3b, v4, -v12
	v_mul_f32_e32 v11, 0x4f800000, v4
	v_div_fmas_f32 v5, v5, v9, v10
	s_delay_alu instid0(VALU_DEP_4) | instskip(NEXT) | instid1(VALU_DEP_4)
	v_sub_f32_e32 v12, v12, v13
	v_fmamk_f32 v14, v4, 0xb2a5705f, v14
	v_cmp_gt_f32_e32 vcc_lo, 0xf800000, v4
	v_cvt_i32_f32_e32 v13, v13
	v_div_fixup_f32 v5, v5, v4, 0x41000000
	s_delay_alu instid0(VALU_DEP_4) | instskip(SKIP_1) | instid1(VALU_DEP_3)
	v_add_f32_e32 v12, v12, v14
	v_cndmask_b32_e32 v11, v4, v11, vcc_lo
	v_add_f32_e32 v5, -2.0, v5
	s_delay_alu instid0(VALU_DEP_3) | instskip(NEXT) | instid1(VALU_DEP_2)
	v_exp_f32_e32 v12, v12
	v_sqrt_f32_e32 v15, v11
	s_delay_alu instid0(VALU_DEP_1) | instskip(NEXT) | instid1(VALU_DEP_1)
	v_fmaak_f32 v9, s0, v5, 0xa397f665
	v_fmaak_f32 v10, v5, v9, 0xa2c38d2e
	s_waitcnt_depctr 0xfff
	v_add_nc_u32_e32 v14, -1, v15
	v_add_nc_u32_e32 v16, 1, v15
	v_add_f32_e32 v10, 0x24704972, v10
	s_delay_alu instid0(VALU_DEP_3) | instskip(NEXT) | instid1(VALU_DEP_3)
	v_fma_f32 v17, -v14, v15, v11
	v_fma_f32 v18, -v16, v15, v11
	s_delay_alu instid0(VALU_DEP_3) | instskip(NEXT) | instid1(VALU_DEP_3)
	v_fma_f32 v9, v5, v10, -v9
	v_cmp_ge_f32_e64 s0, 0, v17
	s_delay_alu instid0(VALU_DEP_2) | instskip(NEXT) | instid1(VALU_DEP_2)
	v_add_f32_e32 v9, 0xa5417ca4, v9
	v_cndmask_b32_e64 v14, v15, v14, s0
	v_cmp_lt_f32_e64 s0, 0, v18
	s_delay_alu instid0(VALU_DEP_3) | instskip(NEXT) | instid1(VALU_DEP_1)
	v_fma_f32 v10, v5, v9, -v10
	v_add_f32_e32 v10, 0x261edfcb, v10
	s_delay_alu instid0(VALU_DEP_1) | instskip(NEXT) | instid1(VALU_DEP_1)
	v_fma_f32 v9, v5, v10, -v9
	v_add_f32_e32 v9, 0xa7053487, v9
	s_delay_alu instid0(VALU_DEP_1) | instskip(NEXT) | instid1(VALU_DEP_1)
	;; [unrolled: 3-line block ×19, first 2 shown]
	v_fma_f32 v9, v5, v10, -v9
	v_add_f32_e32 v9, 0xbd00cfb9, v9
	s_delay_alu instid0(VALU_DEP_1) | instskip(SKIP_3) | instid1(VALU_DEP_4)
	v_fma_f32 v5, v5, v9, -v10
	v_ldexp_f32 v9, v12, v13
	v_cndmask_b32_e64 v12, v14, v16, s0
	v_cmp_nlt_f32_e64 s0, 0x42ce8ed0, v4
	v_add_f32_e32 v5, 0x401c2ded, v5
	s_delay_alu instid0(VALU_DEP_3) | instskip(NEXT) | instid1(VALU_DEP_3)
	v_mul_f32_e32 v13, 0x37800000, v12
	v_cndmask_b32_e64 v9, 0, v9, s0
	v_cmp_ngt_f32_e64 s0, 0xc2b17218, v4
	s_delay_alu instid0(VALU_DEP_4) | instskip(NEXT) | instid1(VALU_DEP_2)
	v_sub_f32_e32 v5, v5, v10
	v_cndmask_b32_e64 v4, 0x7f800000, v9, s0
	v_cndmask_b32_e32 v9, v12, v13, vcc_lo
	s_delay_alu instid0(VALU_DEP_3) | instskip(SKIP_1) | instid1(VALU_DEP_2)
	v_mul_f32_e32 v5, 0.5, v5
	v_cmp_class_f32_e64 vcc_lo, v11, 0x260
	v_dual_mul_f32 v4, v4, v5 :: v_dual_cndmask_b32 v9, v9, v11
	s_delay_alu instid0(VALU_DEP_1) | instskip(NEXT) | instid1(VALU_DEP_1)
	v_div_scale_f32 v5, null, v9, v9, v4
	v_rcp_f32_e32 v10, v5
	s_waitcnt_depctr 0xfff
	v_fma_f32 v11, -v5, v10, 1.0
	s_delay_alu instid0(VALU_DEP_1) | instskip(SKIP_1) | instid1(VALU_DEP_1)
	v_fmac_f32_e32 v10, v11, v10
	v_div_scale_f32 v11, vcc_lo, v4, v9, v4
	v_mul_f32_e32 v12, v11, v10
	s_delay_alu instid0(VALU_DEP_1) | instskip(NEXT) | instid1(VALU_DEP_1)
	v_fma_f32 v13, -v5, v12, v11
	v_fmac_f32_e32 v12, v13, v10
	s_delay_alu instid0(VALU_DEP_1) | instskip(NEXT) | instid1(VALU_DEP_1)
	v_fma_f32 v5, -v5, v12, v11
	v_div_fmas_f32 v5, v5, v10, v12
	s_delay_alu instid0(VALU_DEP_1)
	v_div_fixup_f32 v5, v5, v9, v4
.LBB19_114:
	s_or_b32 exec_lo, exec_lo, s3
.LBB19_115:
	s_delay_alu instid0(SALU_CYCLE_1)
	s_or_b32 exec_lo, exec_lo, s2
.LBB19_116:
	s_delay_alu instid0(SALU_CYCLE_1)
	s_or_b32 exec_lo, exec_lo, s1
	s_clause 0x3
	global_store_b32 v0, v8, s[4:5]
	global_store_b32 v1, v7, s[4:5]
	;; [unrolled: 1-line block ×4, first 2 shown]
	s_nop 0
	s_sendmsg sendmsg(MSG_DEALLOC_VGPRS)
	s_endpgm
.LBB19_117:
	v_mov_b32_e32 v3, v2
	v_mov_b32_e32 v1, 0
.LBB19_118:
	s_and_b32 s34, s34, 3
	s_delay_alu instid0(SALU_CYCLE_1)
	s_cmp_eq_u32 s34, 0
	s_cbranch_scc1 .LBB19_121
; %bb.119:
	s_lshl_b32 s2, s33, 3
	s_mul_i32 s20, s33, 12
	s_add_u32 s2, s2, s0
	s_addc_u32 s3, s1, 0
	s_add_u32 s2, s2, 0xc4
	s_addc_u32 s3, s3, 0
	s_add_u32 s20, s0, s20
	s_addc_u32 s21, s1, 0
	.p2align	6
.LBB19_120:                             ; =>This Inner Loop Header: Depth=1
	s_clause 0x1
	s_load_b64 s[36:37], s[20:21], 0x4
	s_load_b32 s33, s[20:21], 0xc
	s_load_b64 s[38:39], s[2:3], 0x0
	s_add_u32 s20, s20, 12
	s_addc_u32 s21, s21, 0
	s_add_u32 s2, s2, 8
	s_addc_u32 s3, s3, 0
	s_add_i32 s34, s34, -1
	s_delay_alu instid0(SALU_CYCLE_1) | instskip(SKIP_2) | instid1(VALU_DEP_1)
	s_cmp_lg_u32 s34, 0
	s_waitcnt lgkmcnt(0)
	v_mul_hi_u32 v4, s37, v3
	v_add_nc_u32_e32 v4, v3, v4
	s_delay_alu instid0(VALU_DEP_1) | instskip(NEXT) | instid1(VALU_DEP_1)
	v_lshrrev_b32_e32 v7, s33, v4
	v_mul_lo_u32 v4, v7, s36
	s_delay_alu instid0(VALU_DEP_1) | instskip(NEXT) | instid1(VALU_DEP_1)
	v_sub_nc_u32_e32 v3, v3, v4
	v_mad_u64_u32 v[4:5], null, v3, s38, v[0:1]
	v_mad_u64_u32 v[5:6], null, v3, s39, v[1:2]
	s_delay_alu instid0(VALU_DEP_2) | instskip(NEXT) | instid1(VALU_DEP_2)
	v_dual_mov_b32 v3, v7 :: v_dual_mov_b32 v0, v4
	v_mov_b32_e32 v1, v5
	s_cbranch_scc1 .LBB19_120
.LBB19_121:
	s_and_not1_b32 vcc_lo, exec_lo, s31
	s_cbranch_vccnz .LBB19_124
; %bb.122:
	s_waitcnt lgkmcnt(0)
	v_mul_hi_u32 v0, s13, v2
	s_and_not1_b32 vcc_lo, exec_lo, s26
	s_delay_alu instid0(VALU_DEP_1) | instskip(NEXT) | instid1(VALU_DEP_1)
	v_add_nc_u32_e32 v0, v2, v0
	v_lshrrev_b32_e32 v3, s14, v0
	s_delay_alu instid0(VALU_DEP_1) | instskip(NEXT) | instid1(VALU_DEP_1)
	v_mul_lo_u32 v0, v3, s12
	v_sub_nc_u32_e32 v1, v2, v0
	s_delay_alu instid0(VALU_DEP_1)
	v_mul_lo_u32 v0, v1, s8
	v_mul_lo_u32 v1, v1, s9
	s_cbranch_vccnz .LBB19_124
; %bb.123:
	v_mul_hi_u32 v4, s16, v3
	s_delay_alu instid0(VALU_DEP_1) | instskip(NEXT) | instid1(VALU_DEP_1)
	v_add_nc_u32_e32 v4, v3, v4
	v_lshrrev_b32_e32 v4, s17, v4
	s_delay_alu instid0(VALU_DEP_1) | instskip(NEXT) | instid1(VALU_DEP_1)
	v_mul_lo_u32 v4, v4, s15
	v_sub_nc_u32_e32 v6, v3, v4
	s_delay_alu instid0(VALU_DEP_1) | instskip(SKIP_1) | instid1(VALU_DEP_1)
	v_mad_u64_u32 v[3:4], null, v6, s10, v[0:1]
	v_mad_u64_u32 v[4:5], null, v6, s11, v[1:2]
	v_dual_mov_b32 v0, v3 :: v_dual_mov_b32 v1, v4
.LBB19_124:
	s_waitcnt lgkmcnt(0)
	global_load_b32 v1, v1, s[6:7]
	v_mov_b32_e32 v3, 0x7f800000
	s_mov_b32 s3, exec_lo
	s_waitcnt vmcnt(0)
	v_cmpx_neq_f32_e32 0, v1
	s_cbranch_execz .LBB19_136
; %bb.125:
	v_mov_b32_e32 v3, 0x7fc00000
	s_mov_b32 s20, exec_lo
	v_cmpx_ngt_f32_e32 0, v1
	s_cbranch_execz .LBB19_135
; %bb.126:
                                        ; implicit-def: $vgpr3
	s_mov_b32 s2, exec_lo
	v_cmpx_ge_f32_e32 2.0, v1
	s_xor_b32 s21, exec_lo, s2
	s_cbranch_execz .LBB19_132
; %bb.127:
	s_mov_b32 s2, exec_lo
                                        ; implicit-def: $vgpr3
	v_cmpx_ge_f32_e32 0x41000000, v1
	s_xor_b32 s2, exec_lo, s2
	s_cbranch_execz .LBB19_129
; %bb.128:
	v_fma_f32 v3, v1, 0.5, -2.0
	s_mov_b32 s31, 0xa2a2e5b9
	v_mul_f32_e32 v6, 0x3fb8aa3b, v1
	v_cmp_ngt_f32_e32 vcc_lo, 0xc2ce8ed0, v1
	s_delay_alu instid0(VALU_DEP_3) | instskip(NEXT) | instid1(VALU_DEP_3)
	v_fmaak_f32 v4, s31, v3, 0x24199b15
	v_rndne_f32_e32 v7, v6
	v_fma_f32 v8, 0x3fb8aa3b, v1, -v6
	s_delay_alu instid0(VALU_DEP_2) | instskip(NEXT) | instid1(VALU_DEP_2)
	v_dual_fmaak_f32 v5, v3, v4, 0x22a2e5b9 :: v_dual_sub_f32 v6, v6, v7
	v_fmamk_f32 v8, v1, 0x32a5705f, v8
	v_cvt_i32_f32_e32 v7, v7
	s_delay_alu instid0(VALU_DEP_2) | instskip(NEXT) | instid1(VALU_DEP_1)
	v_dual_add_f32 v5, 0xa58c275c, v5 :: v_dual_add_f32 v6, v6, v8
	v_fma_f32 v4, v3, v5, -v4
	s_delay_alu instid0(VALU_DEP_2) | instskip(NEXT) | instid1(VALU_DEP_1)
	v_exp_f32_e32 v6, v6
	v_add_f32_e32 v4, 0x26f736c5, v4
	s_delay_alu instid0(VALU_DEP_1) | instskip(NEXT) | instid1(VALU_DEP_1)
	v_fma_f32 v5, v3, v4, -v5
	v_add_f32_e32 v5, 0xa8528116, v5
	s_delay_alu instid0(VALU_DEP_1) | instskip(NEXT) | instid1(VALU_DEP_1)
	v_fma_f32 v4, v3, v5, -v4
	;; [unrolled: 3-line block ×25, first 2 shown]
	v_add_f32_e32 v5, 0xbe9bff5e, v5
	s_delay_alu instid0(VALU_DEP_1) | instskip(SKIP_1) | instid1(VALU_DEP_2)
	v_fma_f32 v3, v3, v5, -v4
	v_ldexp_f32 v5, v6, v7
	v_add_f32_e32 v3, 0x3f2d4275, v3
	s_delay_alu instid0(VALU_DEP_2) | instskip(SKIP_1) | instid1(VALU_DEP_2)
	v_cndmask_b32_e32 v5, 0, v5, vcc_lo
	v_cmp_nlt_f32_e32 vcc_lo, 0x42b17218, v1
	v_dual_sub_f32 v3, v3, v4 :: v_dual_cndmask_b32 v4, 0x7f800000, v5
	s_delay_alu instid0(VALU_DEP_1) | instskip(NEXT) | instid1(VALU_DEP_1)
	v_mul_f32_e32 v3, 0.5, v3
	v_mul_f32_e32 v3, v4, v3
.LBB19_129:
	s_and_not1_saveexec_b32 s31, s2
	s_cbranch_execz .LBB19_131
; %bb.130:
	v_div_scale_f32 v3, null, v1, v1, 0x42000000
	v_div_scale_f32 v6, vcc_lo, 0x42000000, v1, 0x42000000
	s_mov_b32 s2, 0xa3056dbb
	s_delay_alu instid0(VALU_DEP_2) | instskip(SKIP_2) | instid1(VALU_DEP_1)
	v_rcp_f32_e32 v4, v3
	s_waitcnt_depctr 0xfff
	v_fma_f32 v5, -v3, v4, 1.0
	v_fmac_f32_e32 v4, v5, v4
	s_delay_alu instid0(VALU_DEP_1) | instskip(NEXT) | instid1(VALU_DEP_1)
	v_mul_f32_e32 v5, v6, v4
	v_fma_f32 v7, -v3, v5, v6
	s_delay_alu instid0(VALU_DEP_1) | instskip(SKIP_1) | instid1(VALU_DEP_2)
	v_fmac_f32_e32 v5, v7, v4
	v_mul_f32_e32 v7, 0x3fb8aa3b, v1
	v_fma_f32 v3, -v3, v5, v6
	v_mul_f32_e32 v6, 0x4f800000, v1
	s_delay_alu instid0(VALU_DEP_3) | instskip(SKIP_1) | instid1(VALU_DEP_4)
	v_rndne_f32_e32 v8, v7
	v_fma_f32 v9, 0x3fb8aa3b, v1, -v7
	v_div_fmas_f32 v3, v3, v4, v5
	v_cmp_gt_f32_e32 vcc_lo, 0xf800000, v1
	s_delay_alu instid0(VALU_DEP_4) | instskip(NEXT) | instid1(VALU_DEP_4)
	v_sub_f32_e32 v7, v7, v8
	v_fmamk_f32 v9, v1, 0x32a5705f, v9
	v_cvt_i32_f32_e32 v8, v8
	v_div_fixup_f32 v3, v3, v1, 0x42000000
	s_delay_alu instid0(VALU_DEP_3) | instskip(NEXT) | instid1(VALU_DEP_2)
	v_dual_cndmask_b32 v6, v1, v6 :: v_dual_add_f32 v7, v7, v9
	v_add_f32_e32 v3, -2.0, v3
	s_delay_alu instid0(VALU_DEP_2) | instskip(NEXT) | instid1(VALU_DEP_2)
	v_sqrt_f32_e32 v10, v6
	v_exp_f32_e32 v7, v7
	s_delay_alu instid0(VALU_DEP_1) | instskip(NEXT) | instid1(VALU_DEP_1)
	v_fmaak_f32 v4, s2, v3, 0xa2b236d3
	v_fmaak_f32 v5, v3, v4, 0x23056dbb
	s_waitcnt_depctr 0xfff
	v_add_nc_u32_e32 v9, -1, v10
	v_add_nc_u32_e32 v11, 1, v10
	v_add_f32_e32 v5, 0x244df0c1, v5
	s_delay_alu instid0(VALU_DEP_3) | instskip(NEXT) | instid1(VALU_DEP_3)
	v_fma_f32 v12, -v9, v10, v6
	v_fma_f32 v13, -v11, v10, v6
	s_delay_alu instid0(VALU_DEP_3) | instskip(NEXT) | instid1(VALU_DEP_3)
	v_fma_f32 v4, v3, v5, -v4
	v_cmp_ge_f32_e64 s2, 0, v12
	s_delay_alu instid0(VALU_DEP_2) | instskip(NEXT) | instid1(VALU_DEP_2)
	v_add_f32_e32 v4, 0x241f9ee8, v4
	v_cndmask_b32_e64 v9, v10, v9, s2
	v_cmp_lt_f32_e64 s2, 0, v13
	s_delay_alu instid0(VALU_DEP_3) | instskip(NEXT) | instid1(VALU_DEP_1)
	v_fma_f32 v5, v3, v4, -v5
	v_add_f32_e32 v5, 0xa5a3005d, v5
	s_delay_alu instid0(VALU_DEP_1) | instskip(NEXT) | instid1(VALU_DEP_1)
	v_fma_f32 v4, v3, v5, -v4
	v_add_f32_e32 v4, 0xa5c5773f, v4
	s_delay_alu instid0(VALU_DEP_1) | instskip(NEXT) | instid1(VALU_DEP_1)
	;; [unrolled: 3-line block ×19, first 2 shown]
	v_fma_f32 v4, v3, v5, -v4
	v_add_f32_e32 v4, 0x3b5ccc65, v4
	s_delay_alu instid0(VALU_DEP_1) | instskip(SKIP_3) | instid1(VALU_DEP_4)
	v_fma_f32 v3, v3, v4, -v5
	v_ldexp_f32 v4, v7, v8
	v_cndmask_b32_e64 v7, v9, v11, s2
	v_cmp_ngt_f32_e64 s2, 0xc2ce8ed0, v1
	v_add_f32_e32 v3, 0x3f4df315, v3
	s_delay_alu instid0(VALU_DEP_3) | instskip(NEXT) | instid1(VALU_DEP_3)
	v_mul_f32_e32 v8, 0x37800000, v7
	v_cndmask_b32_e64 v4, 0, v4, s2
	v_cmp_nlt_f32_e64 s2, 0x42b17218, v1
	s_delay_alu instid0(VALU_DEP_4) | instskip(NEXT) | instid1(VALU_DEP_4)
	v_sub_f32_e32 v3, v3, v5
	v_cndmask_b32_e32 v5, v7, v8, vcc_lo
	v_cmp_class_f32_e64 vcc_lo, v6, 0x260
	s_delay_alu instid0(VALU_DEP_4) | instskip(NEXT) | instid1(VALU_DEP_4)
	v_cndmask_b32_e64 v4, 0x7f800000, v4, s2
	v_mul_f32_e32 v3, 0.5, v3
	s_delay_alu instid0(VALU_DEP_4) | instskip(NEXT) | instid1(VALU_DEP_2)
	v_cndmask_b32_e32 v5, v5, v6, vcc_lo
	v_mul_f32_e32 v3, v4, v3
	s_delay_alu instid0(VALU_DEP_1) | instskip(NEXT) | instid1(VALU_DEP_1)
	v_div_scale_f32 v4, null, v5, v5, v3
	v_rcp_f32_e32 v6, v4
	s_waitcnt_depctr 0xfff
	v_fma_f32 v7, -v4, v6, 1.0
	s_delay_alu instid0(VALU_DEP_1) | instskip(SKIP_1) | instid1(VALU_DEP_1)
	v_fmac_f32_e32 v6, v7, v6
	v_div_scale_f32 v7, vcc_lo, v3, v5, v3
	v_mul_f32_e32 v8, v7, v6
	s_delay_alu instid0(VALU_DEP_1) | instskip(NEXT) | instid1(VALU_DEP_1)
	v_fma_f32 v9, -v4, v8, v7
	v_fmac_f32_e32 v8, v9, v6
	s_delay_alu instid0(VALU_DEP_1) | instskip(NEXT) | instid1(VALU_DEP_1)
	v_fma_f32 v4, -v4, v8, v7
	v_div_fmas_f32 v4, v4, v6, v8
	s_delay_alu instid0(VALU_DEP_1)
	v_div_fixup_f32 v3, v4, v5, v3
.LBB19_131:
	s_or_b32 exec_lo, exec_lo, s31
	v_cvt_f64_f32_e32 v[4:5], v1
	s_mov_b32 s35, 0x3fe55555
	s_mov_b32 s34, 0x55555555
	v_fma_f32 v1, v1, v1, -2.0
	v_mov_b32_e32 v8, 0
	s_mov_b32 s36, 0x6b47b09a
	s_mov_b32 s38, 0xbf559e2b
	;; [unrolled: 1-line block ×5, first 2 shown]
	s_delay_alu instid0(VALU_DEP_3) | instskip(NEXT) | instid1(VALU_DEP_1)
	v_mul_f64 v[4:5], v[4:5], 0.5
	v_frexp_mant_f64_e32 v[6:7], v[4:5]
	s_delay_alu instid0(VALU_DEP_1) | instskip(SKIP_2) | instid1(VALU_DEP_1)
	v_cmp_gt_f64_e32 vcc_lo, s[34:35], v[6:7]
	s_mov_b32 s34, 0x55555780
	v_cndmask_b32_e64 v9, 0x3ff00000, 2.0, vcc_lo
	v_mul_f64 v[6:7], v[6:7], v[8:9]
	s_delay_alu instid0(VALU_DEP_1) | instskip(SKIP_1) | instid1(VALU_DEP_2)
	v_add_f64 v[8:9], v[6:7], 1.0
	v_add_f64 v[14:15], v[6:7], -1.0
	v_rcp_f64_e32 v[10:11], v[8:9]
	v_add_f64 v[16:17], v[8:9], -1.0
	s_delay_alu instid0(VALU_DEP_1) | instskip(SKIP_2) | instid1(VALU_DEP_1)
	v_add_f64 v[6:7], v[6:7], -v[16:17]
	s_waitcnt_depctr 0xfff
	v_fma_f64 v[12:13], -v[8:9], v[10:11], 1.0
	v_fma_f64 v[10:11], v[12:13], v[10:11], v[10:11]
	s_delay_alu instid0(VALU_DEP_1) | instskip(NEXT) | instid1(VALU_DEP_1)
	v_fma_f64 v[12:13], -v[8:9], v[10:11], 1.0
	v_fma_f64 v[10:11], v[12:13], v[10:11], v[10:11]
	s_delay_alu instid0(VALU_DEP_1) | instskip(NEXT) | instid1(VALU_DEP_1)
	v_mul_f64 v[12:13], v[14:15], v[10:11]
	v_mul_f64 v[18:19], v[8:9], v[12:13]
	s_delay_alu instid0(VALU_DEP_1) | instskip(NEXT) | instid1(VALU_DEP_1)
	v_fma_f64 v[8:9], v[12:13], v[8:9], -v[18:19]
	v_fma_f64 v[6:7], v[12:13], v[6:7], v[8:9]
	s_delay_alu instid0(VALU_DEP_1) | instskip(NEXT) | instid1(VALU_DEP_1)
	v_add_f64 v[8:9], v[18:19], v[6:7]
	v_add_f64 v[16:17], v[14:15], -v[8:9]
	v_add_f64 v[18:19], v[8:9], -v[18:19]
	s_delay_alu instid0(VALU_DEP_2) | instskip(NEXT) | instid1(VALU_DEP_2)
	v_add_f64 v[14:15], v[14:15], -v[16:17]
	v_add_f64 v[6:7], v[18:19], -v[6:7]
	v_frexp_exp_i32_f64_e32 v18, v[4:5]
	s_delay_alu instid0(VALU_DEP_3) | instskip(NEXT) | instid1(VALU_DEP_1)
	v_add_f64 v[8:9], v[14:15], -v[8:9]
	v_add_f64 v[6:7], v[6:7], v[8:9]
	s_delay_alu instid0(VALU_DEP_1) | instskip(NEXT) | instid1(VALU_DEP_1)
	v_add_f64 v[6:7], v[16:17], v[6:7]
	v_mul_f64 v[6:7], v[10:11], v[6:7]
	s_delay_alu instid0(VALU_DEP_1) | instskip(NEXT) | instid1(VALU_DEP_1)
	v_add_f64 v[8:9], v[12:13], v[6:7]
	v_mul_f64 v[10:11], v[8:9], v[8:9]
	s_delay_alu instid0(VALU_DEP_1) | instskip(SKIP_3) | instid1(VALU_DEP_2)
	v_fma_f64 v[14:15], v[10:11], s[38:39], s[36:37]
	s_mov_b32 s36, 0xd7f4df2e
	s_mov_b32 s37, 0x3fc7474d
	v_mul_f64 v[16:17], v[8:9], v[10:11]
	v_fma_f64 v[14:15], v[10:11], v[14:15], s[36:37]
	s_mov_b32 s36, 0x16291751
	s_mov_b32 s37, 0x3fcc71c0
	s_delay_alu instid0(VALU_DEP_1) | instid1(SALU_CYCLE_1)
	v_fma_f64 v[14:15], v[10:11], v[14:15], s[36:37]
	s_mov_b32 s36, 0x9b27acf1
	s_mov_b32 s37, 0x3fd24924
	s_delay_alu instid0(VALU_DEP_1) | instid1(SALU_CYCLE_1)
	;; [unrolled: 4-line block ×3, first 2 shown]
	v_fma_f64 v[14:15], v[10:11], v[14:15], s[36:37]
	s_delay_alu instid0(VALU_DEP_1) | instskip(SKIP_4) | instid1(VALU_DEP_3)
	v_fma_f64 v[10:11], v[10:11], v[14:15], s[34:35]
	v_ldexp_f64 v[14:15], v[8:9], 1
	v_add_f64 v[8:9], v[8:9], -v[12:13]
	s_mov_b32 s34, 0xfefa39ef
	s_mov_b32 s35, 0x3fe62e42
	v_mul_f64 v[10:11], v[16:17], v[10:11]
	v_subrev_co_ci_u32_e32 v16, vcc_lo, 0, v18, vcc_lo
	s_delay_alu instid0(VALU_DEP_3) | instskip(SKIP_1) | instid1(VALU_DEP_3)
	v_add_f64 v[6:7], v[6:7], -v[8:9]
	v_cmp_eq_f64_e32 vcc_lo, 0x7ff00000, v[4:5]
	v_cvt_f64_i32_e32 v[16:17], v16
	v_add_f64 v[12:13], v[14:15], v[10:11]
	s_delay_alu instid0(VALU_DEP_4) | instskip(NEXT) | instid1(VALU_DEP_3)
	v_ldexp_f64 v[6:7], v[6:7], 1
	v_mul_f64 v[18:19], v[16:17], s[34:35]
	s_delay_alu instid0(VALU_DEP_3) | instskip(NEXT) | instid1(VALU_DEP_2)
	v_add_f64 v[8:9], v[12:13], -v[14:15]
	v_fma_f64 v[14:15], v[16:17], s[34:35], -v[18:19]
	s_mov_b32 s34, 0x3b39803f
	s_mov_b32 s35, 0x3c7abc9e
	s_delay_alu instid0(VALU_DEP_2) | instskip(NEXT) | instid1(VALU_DEP_2)
	v_add_f64 v[8:9], v[10:11], -v[8:9]
	v_fma_f64 v[10:11], v[16:17], s[34:35], v[14:15]
	s_delay_alu instid0(VALU_DEP_2) | instskip(NEXT) | instid1(VALU_DEP_2)
	v_add_f64 v[6:7], v[6:7], v[8:9]
	v_add_f64 v[8:9], v[18:19], v[10:11]
	s_delay_alu instid0(VALU_DEP_2) | instskip(NEXT) | instid1(VALU_DEP_2)
	v_add_f64 v[14:15], v[12:13], v[6:7]
	v_add_f64 v[18:19], v[8:9], -v[18:19]
	s_delay_alu instid0(VALU_DEP_2) | instskip(SKIP_1) | instid1(VALU_DEP_3)
	v_add_f64 v[16:17], v[8:9], v[14:15]
	v_add_f64 v[12:13], v[14:15], -v[12:13]
	v_add_f64 v[10:11], v[10:11], -v[18:19]
	s_delay_alu instid0(VALU_DEP_3) | instskip(NEXT) | instid1(VALU_DEP_3)
	v_add_f64 v[20:21], v[16:17], -v[8:9]
	v_add_f64 v[6:7], v[6:7], -v[12:13]
	s_delay_alu instid0(VALU_DEP_2) | instskip(SKIP_1) | instid1(VALU_DEP_3)
	v_add_f64 v[22:23], v[16:17], -v[20:21]
	v_add_f64 v[12:13], v[14:15], -v[20:21]
	v_add_f64 v[14:15], v[10:11], v[6:7]
	s_delay_alu instid0(VALU_DEP_3) | instskip(NEXT) | instid1(VALU_DEP_1)
	v_add_f64 v[8:9], v[8:9], -v[22:23]
	v_add_f64 v[8:9], v[12:13], v[8:9]
	s_delay_alu instid0(VALU_DEP_3) | instskip(NEXT) | instid1(VALU_DEP_2)
	v_add_f64 v[12:13], v[14:15], -v[10:11]
	v_add_f64 v[8:9], v[14:15], v[8:9]
	s_delay_alu instid0(VALU_DEP_2) | instskip(SKIP_1) | instid1(VALU_DEP_3)
	v_add_f64 v[14:15], v[14:15], -v[12:13]
	v_add_f64 v[6:7], v[6:7], -v[12:13]
	v_add_f64 v[18:19], v[16:17], v[8:9]
	s_delay_alu instid0(VALU_DEP_3) | instskip(NEXT) | instid1(VALU_DEP_2)
	v_add_f64 v[10:11], v[10:11], -v[14:15]
	v_add_f64 v[12:13], v[18:19], -v[16:17]
	s_delay_alu instid0(VALU_DEP_2) | instskip(SKIP_1) | instid1(VALU_DEP_1)
	v_add_f64 v[6:7], v[6:7], v[10:11]
	v_fmaak_f32 v10, s2, v1, 0x293fd856
	v_fmaak_f32 v11, v1, v10, 0xa51e770f
	s_delay_alu instid0(VALU_DEP_4) | instskip(NEXT) | instid1(VALU_DEP_1)
	v_add_f64 v[8:9], v[8:9], -v[12:13]
	v_add_f64 v[6:7], v[6:7], v[8:9]
	s_delay_alu instid0(VALU_DEP_1) | instskip(NEXT) | instid1(VALU_DEP_4)
	v_add_f64 v[6:7], v[18:19], v[6:7]
	v_add_f32_e32 v11, 0x2d3612e2, v11
	s_delay_alu instid0(VALU_DEP_1) | instskip(NEXT) | instid1(VALU_DEP_1)
	v_fma_f32 v8, v1, v11, -v10
	v_add_f32_e32 v8, 0x3102e09b, v8
	s_delay_alu instid0(VALU_DEP_1) | instskip(NEXT) | instid1(VALU_DEP_1)
	v_fma_f32 v9, v1, v8, -v11
	;; [unrolled: 3-line block ×6, first 2 shown]
	v_add_f32_e32 v9, 0x3eb046c4, v9
	s_delay_alu instid0(VALU_DEP_1) | instskip(SKIP_1) | instid1(VALU_DEP_2)
	v_fma_f32 v1, v1, v9, -v8
	v_cndmask_b32_e32 v9, v7, v5, vcc_lo
	v_add_f32_e32 v1, 0xbf090b37, v1
	s_delay_alu instid0(VALU_DEP_1) | instskip(SKIP_3) | instid1(VALU_DEP_4)
	v_sub_f32_e32 v1, v1, v8
	v_cndmask_b32_e32 v8, v6, v4, vcc_lo
	v_cmp_neq_f64_e32 vcc_lo, 0, v[4:5]
	v_cvt_f64_f32_e32 v[6:7], v3
	v_mul_f32_e32 v1, 0.5, v1
	s_delay_alu instid0(VALU_DEP_1) | instskip(SKIP_2) | instid1(VALU_DEP_1)
	v_cvt_f64_f32_e32 v[4:5], v1
                                        ; implicit-def: $vgpr1
	v_cndmask_b32_e32 v9, 0xfff00000, v9, vcc_lo
	v_cndmask_b32_e32 v8, 0, v8, vcc_lo
	v_fma_f64 v[3:4], -v[8:9], v[6:7], v[4:5]
	s_delay_alu instid0(VALU_DEP_1)
	v_cvt_f32_f64_e32 v3, v[3:4]
.LBB19_132:
	s_and_not1_saveexec_b32 s21, s21
	s_cbranch_execz .LBB19_134
; %bb.133:
	v_div_scale_f32 v3, null, v1, v1, 0x41000000
	v_div_scale_f32 v6, vcc_lo, 0x41000000, v1, 0x41000000
	s_mov_b32 s2, 0x22c38d2e
	s_delay_alu instid0(VALU_DEP_2) | instskip(SKIP_2) | instid1(VALU_DEP_1)
	v_rcp_f32_e32 v4, v3
	s_waitcnt_depctr 0xfff
	v_fma_f32 v5, -v3, v4, 1.0
	v_fmac_f32_e32 v4, v5, v4
	s_delay_alu instid0(VALU_DEP_1) | instskip(NEXT) | instid1(VALU_DEP_1)
	v_mul_f32_e32 v5, v6, v4
	v_fma_f32 v7, -v3, v5, v6
	s_delay_alu instid0(VALU_DEP_1) | instskip(SKIP_1) | instid1(VALU_DEP_2)
	v_fmac_f32_e32 v5, v7, v4
	v_mul_f32_e32 v7, 0xbfb8aa3b, v1
	v_fma_f32 v3, -v3, v5, v6
	v_mul_f32_e32 v6, 0x4f800000, v1
	s_delay_alu instid0(VALU_DEP_3) | instskip(SKIP_1) | instid1(VALU_DEP_4)
	v_rndne_f32_e32 v8, v7
	v_fma_f32 v9, 0xbfb8aa3b, v1, -v7
	v_div_fmas_f32 v3, v3, v4, v5
	v_cmp_gt_f32_e32 vcc_lo, 0xf800000, v1
	s_delay_alu instid0(VALU_DEP_4) | instskip(NEXT) | instid1(VALU_DEP_4)
	v_sub_f32_e32 v7, v7, v8
	v_fmamk_f32 v9, v1, 0xb2a5705f, v9
	v_cvt_i32_f32_e32 v8, v8
	v_div_fixup_f32 v3, v3, v1, 0x41000000
	s_delay_alu instid0(VALU_DEP_3) | instskip(NEXT) | instid1(VALU_DEP_2)
	v_dual_cndmask_b32 v6, v1, v6 :: v_dual_add_f32 v7, v7, v9
	v_add_f32_e32 v3, -2.0, v3
	s_delay_alu instid0(VALU_DEP_2) | instskip(NEXT) | instid1(VALU_DEP_2)
	v_sqrt_f32_e32 v10, v6
	v_exp_f32_e32 v7, v7
	s_delay_alu instid0(VALU_DEP_1) | instskip(NEXT) | instid1(VALU_DEP_1)
	v_fmaak_f32 v4, s2, v3, 0xa397f665
	v_fmaak_f32 v5, v3, v4, 0xa2c38d2e
	s_waitcnt_depctr 0xfff
	v_add_nc_u32_e32 v9, -1, v10
	v_add_nc_u32_e32 v11, 1, v10
	v_add_f32_e32 v5, 0x24704972, v5
	s_delay_alu instid0(VALU_DEP_3) | instskip(NEXT) | instid1(VALU_DEP_3)
	v_fma_f32 v12, -v9, v10, v6
	v_fma_f32 v13, -v11, v10, v6
	s_delay_alu instid0(VALU_DEP_3) | instskip(NEXT) | instid1(VALU_DEP_3)
	v_fma_f32 v4, v3, v5, -v4
	v_cmp_ge_f32_e64 s2, 0, v12
	s_delay_alu instid0(VALU_DEP_2) | instskip(NEXT) | instid1(VALU_DEP_2)
	v_add_f32_e32 v4, 0xa5417ca4, v4
	v_cndmask_b32_e64 v9, v10, v9, s2
	v_cmp_lt_f32_e64 s2, 0, v13
	s_delay_alu instid0(VALU_DEP_3) | instskip(NEXT) | instid1(VALU_DEP_1)
	v_fma_f32 v5, v3, v4, -v5
	v_add_f32_e32 v5, 0x261edfcb, v5
	s_delay_alu instid0(VALU_DEP_1) | instskip(NEXT) | instid1(VALU_DEP_1)
	v_fma_f32 v4, v3, v5, -v4
	v_add_f32_e32 v4, 0xa7053487, v4
	s_delay_alu instid0(VALU_DEP_1) | instskip(NEXT) | instid1(VALU_DEP_1)
	;; [unrolled: 3-line block ×19, first 2 shown]
	v_fma_f32 v4, v3, v5, -v4
	v_add_f32_e32 v4, 0xbd00cfb9, v4
	s_delay_alu instid0(VALU_DEP_1) | instskip(SKIP_3) | instid1(VALU_DEP_4)
	v_fma_f32 v3, v3, v4, -v5
	v_ldexp_f32 v4, v7, v8
	v_cndmask_b32_e64 v7, v9, v11, s2
	v_cmp_nlt_f32_e64 s2, 0x42ce8ed0, v1
	v_add_f32_e32 v3, 0x401c2ded, v3
	s_delay_alu instid0(VALU_DEP_3) | instskip(NEXT) | instid1(VALU_DEP_3)
	v_mul_f32_e32 v8, 0x37800000, v7
	v_cndmask_b32_e64 v4, 0, v4, s2
	v_cmp_ngt_f32_e64 s2, 0xc2b17218, v1
	s_delay_alu instid0(VALU_DEP_4) | instskip(NEXT) | instid1(VALU_DEP_2)
	v_sub_f32_e32 v3, v3, v5
	v_cndmask_b32_e64 v1, 0x7f800000, v4, s2
	s_delay_alu instid0(VALU_DEP_2) | instskip(SKIP_1) | instid1(VALU_DEP_2)
	v_dual_cndmask_b32 v4, v7, v8 :: v_dual_mul_f32 v3, 0.5, v3
	v_cmp_class_f32_e64 vcc_lo, v6, 0x260
	v_dual_mul_f32 v1, v1, v3 :: v_dual_cndmask_b32 v4, v4, v6
	s_delay_alu instid0(VALU_DEP_1) | instskip(NEXT) | instid1(VALU_DEP_1)
	v_div_scale_f32 v3, null, v4, v4, v1
	v_rcp_f32_e32 v5, v3
	s_waitcnt_depctr 0xfff
	v_fma_f32 v6, -v3, v5, 1.0
	s_delay_alu instid0(VALU_DEP_1) | instskip(SKIP_1) | instid1(VALU_DEP_1)
	v_fmac_f32_e32 v5, v6, v5
	v_div_scale_f32 v6, vcc_lo, v1, v4, v1
	v_mul_f32_e32 v7, v6, v5
	s_delay_alu instid0(VALU_DEP_1) | instskip(NEXT) | instid1(VALU_DEP_1)
	v_fma_f32 v8, -v3, v7, v6
	v_fmac_f32_e32 v7, v8, v5
	s_delay_alu instid0(VALU_DEP_1) | instskip(NEXT) | instid1(VALU_DEP_1)
	v_fma_f32 v3, -v3, v7, v6
	v_div_fmas_f32 v3, v3, v5, v7
	s_delay_alu instid0(VALU_DEP_1)
	v_div_fixup_f32 v3, v3, v4, v1
.LBB19_134:
	s_or_b32 exec_lo, exec_lo, s21
.LBB19_135:
	s_delay_alu instid0(SALU_CYCLE_1)
	s_or_b32 exec_lo, exec_lo, s20
.LBB19_136:
	s_delay_alu instid0(SALU_CYCLE_1) | instskip(SKIP_3) | instid1(SALU_CYCLE_1)
	s_or_b32 exec_lo, exec_lo, s3
	v_add_nc_u32_e32 v2, 0x80, v2
	global_store_b32 v0, v3, s[4:5]
	s_or_b32 exec_lo, exec_lo, s30
	s_mov_b32 s30, exec_lo
	v_cmpx_gt_i32_e64 s27, v2
	s_cbranch_execnz .LBB19_15
.LBB19_137:
	s_or_b32 exec_lo, exec_lo, s30
	s_delay_alu instid0(SALU_CYCLE_1)
	s_mov_b32 s30, exec_lo
	v_cmpx_gt_i32_e64 s27, v2
	s_cbranch_execz .LBB19_164
.LBB19_138:
	s_and_not1_b32 vcc_lo, exec_lo, s24
	s_cbranch_vccnz .LBB19_143
; %bb.139:
	v_dual_mov_b32 v0, 0 :: v_dual_mov_b32 v1, 0
	s_and_not1_b32 vcc_lo, exec_lo, s29
	s_mov_b32 s31, 0
	s_cbranch_vccnz .LBB19_171
; %bb.140:
	v_mov_b32_e32 v0, 0
	s_add_i32 s34, s28, 1
	s_cmp_eq_u32 s23, 2
	s_mov_b32 s33, 0
	s_cbranch_scc1 .LBB19_167
; %bb.141:
	v_dual_mov_b32 v1, 0 :: v_dual_mov_b32 v0, 0
	v_mov_b32_e32 v3, v2
	s_and_b32 s33, s34, 28
	s_mov_b32 s35, 0
	s_mov_b64 s[2:3], s[18:19]
	s_mov_b64 s[20:21], s[0:1]
.LBB19_142:                             ; =>This Inner Loop Header: Depth=1
	s_clause 0x1
	s_load_b256 s[36:43], s[20:21], 0x4
	s_load_b128 s[52:55], s[20:21], 0x24
	s_load_b256 s[44:51], s[2:3], 0x0
	s_add_u32 s20, s20, 48
	s_addc_u32 s21, s21, 0
	s_add_i32 s35, s35, 4
	s_add_u32 s2, s2, 32
	s_addc_u32 s3, s3, 0
	s_cmp_eq_u32 s33, s35
	s_waitcnt lgkmcnt(0)
	v_mul_hi_u32 v4, s37, v3
	s_delay_alu instid0(VALU_DEP_1) | instskip(NEXT) | instid1(VALU_DEP_1)
	v_add_nc_u32_e32 v4, v3, v4
	v_lshrrev_b32_e32 v4, s38, v4
	s_delay_alu instid0(VALU_DEP_1) | instskip(SKIP_1) | instid1(VALU_DEP_2)
	v_mul_hi_u32 v5, s40, v4
	v_mul_lo_u32 v7, v4, s36
	v_add_nc_u32_e32 v5, v4, v5
	s_delay_alu instid0(VALU_DEP_2) | instskip(NEXT) | instid1(VALU_DEP_2)
	v_sub_nc_u32_e32 v3, v3, v7
	v_lshrrev_b32_e32 v5, s41, v5
	s_delay_alu instid0(VALU_DEP_2) | instskip(SKIP_1) | instid1(VALU_DEP_3)
	v_mul_lo_u32 v7, v3, s44
	v_mul_lo_u32 v9, v3, s45
	v_mul_hi_u32 v6, s43, v5
	s_delay_alu instid0(VALU_DEP_1) | instskip(NEXT) | instid1(VALU_DEP_1)
	v_add_nc_u32_e32 v6, v5, v6
	v_lshrrev_b32_e32 v6, s52, v6
	s_delay_alu instid0(VALU_DEP_1) | instskip(SKIP_1) | instid1(VALU_DEP_2)
	v_mul_hi_u32 v8, s54, v6
	v_mul_lo_u32 v10, v6, s42
	v_add_nc_u32_e32 v3, v6, v8
	v_mul_lo_u32 v8, v5, s39
	s_delay_alu instid0(VALU_DEP_3) | instskip(NEXT) | instid1(VALU_DEP_3)
	v_sub_nc_u32_e32 v5, v5, v10
	v_lshrrev_b32_e32 v3, s55, v3
	s_delay_alu instid0(VALU_DEP_2) | instskip(SKIP_2) | instid1(VALU_DEP_4)
	v_mul_lo_u32 v10, v5, s48
	v_mul_lo_u32 v5, v5, s49
	v_sub_nc_u32_e32 v4, v4, v8
	v_mul_lo_u32 v11, v3, s53
	s_delay_alu instid0(VALU_DEP_2) | instskip(SKIP_1) | instid1(VALU_DEP_3)
	v_mul_lo_u32 v8, v4, s46
	v_mul_lo_u32 v4, v4, s47
	v_sub_nc_u32_e32 v6, v6, v11
	s_delay_alu instid0(VALU_DEP_3) | instskip(NEXT) | instid1(VALU_DEP_2)
	v_add3_u32 v0, v7, v0, v8
	v_mul_lo_u32 v11, v6, s50
	v_mul_lo_u32 v6, v6, s51
	v_add3_u32 v1, v9, v1, v4
	s_delay_alu instid0(VALU_DEP_3) | instskip(NEXT) | instid1(VALU_DEP_2)
	v_add3_u32 v0, v10, v0, v11
	v_add3_u32 v1, v5, v1, v6
	s_cbranch_scc0 .LBB19_142
	s_branch .LBB19_168
.LBB19_143:
	s_mov_b32 s31, -1
                                        ; implicit-def: $vgpr0
                                        ; implicit-def: $vgpr1
	s_branch .LBB19_171
.LBB19_144:
	v_mov_b32_e32 v3, v2
	v_mov_b32_e32 v1, 0
.LBB19_145:
	s_and_b32 s34, s34, 3
	s_delay_alu instid0(SALU_CYCLE_1)
	s_cmp_eq_u32 s34, 0
	s_cbranch_scc1 .LBB19_148
; %bb.146:
	s_lshl_b32 s2, s33, 3
	s_mul_i32 s20, s33, 12
	s_add_u32 s2, s2, s0
	s_addc_u32 s3, s1, 0
	s_add_u32 s2, s2, 0xc4
	s_addc_u32 s3, s3, 0
	;; [unrolled: 2-line block ×3, first 2 shown]
	.p2align	6
.LBB19_147:                             ; =>This Inner Loop Header: Depth=1
	s_clause 0x1
	s_load_b64 s[36:37], s[20:21], 0x4
	s_load_b32 s33, s[20:21], 0xc
	s_load_b64 s[38:39], s[2:3], 0x0
	s_add_u32 s20, s20, 12
	s_addc_u32 s21, s21, 0
	s_add_u32 s2, s2, 8
	s_addc_u32 s3, s3, 0
	s_add_i32 s34, s34, -1
	s_delay_alu instid0(SALU_CYCLE_1) | instskip(SKIP_2) | instid1(VALU_DEP_1)
	s_cmp_lg_u32 s34, 0
	s_waitcnt lgkmcnt(0)
	v_mul_hi_u32 v4, s37, v3
	v_add_nc_u32_e32 v4, v3, v4
	s_delay_alu instid0(VALU_DEP_1) | instskip(NEXT) | instid1(VALU_DEP_1)
	v_lshrrev_b32_e32 v7, s33, v4
	v_mul_lo_u32 v4, v7, s36
	s_delay_alu instid0(VALU_DEP_1) | instskip(NEXT) | instid1(VALU_DEP_1)
	v_sub_nc_u32_e32 v3, v3, v4
	v_mad_u64_u32 v[4:5], null, v3, s38, v[0:1]
	v_mad_u64_u32 v[5:6], null, v3, s39, v[1:2]
	s_delay_alu instid0(VALU_DEP_2) | instskip(NEXT) | instid1(VALU_DEP_2)
	v_dual_mov_b32 v3, v7 :: v_dual_mov_b32 v0, v4
	v_mov_b32_e32 v1, v5
	s_cbranch_scc1 .LBB19_147
.LBB19_148:
	s_and_not1_b32 vcc_lo, exec_lo, s31
	s_cbranch_vccnz .LBB19_151
; %bb.149:
	s_waitcnt lgkmcnt(0)
	v_mul_hi_u32 v0, s13, v2
	s_and_not1_b32 vcc_lo, exec_lo, s26
	s_delay_alu instid0(VALU_DEP_1) | instskip(NEXT) | instid1(VALU_DEP_1)
	v_add_nc_u32_e32 v0, v2, v0
	v_lshrrev_b32_e32 v3, s14, v0
	s_delay_alu instid0(VALU_DEP_1) | instskip(NEXT) | instid1(VALU_DEP_1)
	v_mul_lo_u32 v0, v3, s12
	v_sub_nc_u32_e32 v1, v2, v0
	s_delay_alu instid0(VALU_DEP_1)
	v_mul_lo_u32 v0, v1, s8
	v_mul_lo_u32 v1, v1, s9
	s_cbranch_vccnz .LBB19_151
; %bb.150:
	v_mul_hi_u32 v4, s16, v3
	s_delay_alu instid0(VALU_DEP_1) | instskip(NEXT) | instid1(VALU_DEP_1)
	v_add_nc_u32_e32 v4, v3, v4
	v_lshrrev_b32_e32 v4, s17, v4
	s_delay_alu instid0(VALU_DEP_1) | instskip(NEXT) | instid1(VALU_DEP_1)
	v_mul_lo_u32 v4, v4, s15
	v_sub_nc_u32_e32 v6, v3, v4
	s_delay_alu instid0(VALU_DEP_1) | instskip(SKIP_1) | instid1(VALU_DEP_1)
	v_mad_u64_u32 v[3:4], null, v6, s10, v[0:1]
	v_mad_u64_u32 v[4:5], null, v6, s11, v[1:2]
	v_dual_mov_b32 v0, v3 :: v_dual_mov_b32 v1, v4
.LBB19_151:
	s_waitcnt lgkmcnt(0)
	global_load_b32 v1, v1, s[6:7]
	v_mov_b32_e32 v3, 0x7f800000
	s_mov_b32 s3, exec_lo
	s_waitcnt vmcnt(0)
	v_cmpx_neq_f32_e32 0, v1
	s_cbranch_execz .LBB19_163
; %bb.152:
	v_mov_b32_e32 v3, 0x7fc00000
	s_mov_b32 s20, exec_lo
	v_cmpx_ngt_f32_e32 0, v1
	s_cbranch_execz .LBB19_162
; %bb.153:
                                        ; implicit-def: $vgpr3
	s_mov_b32 s2, exec_lo
	v_cmpx_ge_f32_e32 2.0, v1
	s_xor_b32 s21, exec_lo, s2
	s_cbranch_execz .LBB19_159
; %bb.154:
	s_mov_b32 s2, exec_lo
                                        ; implicit-def: $vgpr3
	v_cmpx_ge_f32_e32 0x41000000, v1
	s_xor_b32 s2, exec_lo, s2
	s_cbranch_execz .LBB19_156
; %bb.155:
	v_fma_f32 v3, v1, 0.5, -2.0
	s_mov_b32 s31, 0xa2a2e5b9
	v_mul_f32_e32 v6, 0x3fb8aa3b, v1
	v_cmp_ngt_f32_e32 vcc_lo, 0xc2ce8ed0, v1
	s_delay_alu instid0(VALU_DEP_3) | instskip(NEXT) | instid1(VALU_DEP_3)
	v_fmaak_f32 v4, s31, v3, 0x24199b15
	v_rndne_f32_e32 v7, v6
	v_fma_f32 v8, 0x3fb8aa3b, v1, -v6
	s_delay_alu instid0(VALU_DEP_2) | instskip(NEXT) | instid1(VALU_DEP_2)
	v_dual_fmaak_f32 v5, v3, v4, 0x22a2e5b9 :: v_dual_sub_f32 v6, v6, v7
	v_fmamk_f32 v8, v1, 0x32a5705f, v8
	v_cvt_i32_f32_e32 v7, v7
	s_delay_alu instid0(VALU_DEP_2) | instskip(NEXT) | instid1(VALU_DEP_1)
	v_dual_add_f32 v5, 0xa58c275c, v5 :: v_dual_add_f32 v6, v6, v8
	v_fma_f32 v4, v3, v5, -v4
	s_delay_alu instid0(VALU_DEP_2) | instskip(NEXT) | instid1(VALU_DEP_1)
	v_exp_f32_e32 v6, v6
	v_add_f32_e32 v4, 0x26f736c5, v4
	s_delay_alu instid0(VALU_DEP_1) | instskip(NEXT) | instid1(VALU_DEP_1)
	v_fma_f32 v5, v3, v4, -v5
	v_add_f32_e32 v5, 0xa8528116, v5
	s_delay_alu instid0(VALU_DEP_1) | instskip(NEXT) | instid1(VALU_DEP_1)
	v_fma_f32 v4, v3, v5, -v4
	;; [unrolled: 3-line block ×25, first 2 shown]
	v_add_f32_e32 v5, 0xbe9bff5e, v5
	s_delay_alu instid0(VALU_DEP_1) | instskip(SKIP_1) | instid1(VALU_DEP_2)
	v_fma_f32 v3, v3, v5, -v4
	v_ldexp_f32 v5, v6, v7
	v_add_f32_e32 v3, 0x3f2d4275, v3
	s_delay_alu instid0(VALU_DEP_2) | instskip(SKIP_1) | instid1(VALU_DEP_2)
	v_cndmask_b32_e32 v5, 0, v5, vcc_lo
	v_cmp_nlt_f32_e32 vcc_lo, 0x42b17218, v1
	v_dual_sub_f32 v3, v3, v4 :: v_dual_cndmask_b32 v4, 0x7f800000, v5
	s_delay_alu instid0(VALU_DEP_1) | instskip(NEXT) | instid1(VALU_DEP_1)
	v_mul_f32_e32 v3, 0.5, v3
	v_mul_f32_e32 v3, v4, v3
.LBB19_156:
	s_and_not1_saveexec_b32 s31, s2
	s_cbranch_execz .LBB19_158
; %bb.157:
	v_div_scale_f32 v3, null, v1, v1, 0x42000000
	v_div_scale_f32 v6, vcc_lo, 0x42000000, v1, 0x42000000
	s_mov_b32 s2, 0xa3056dbb
	s_delay_alu instid0(VALU_DEP_2) | instskip(SKIP_2) | instid1(VALU_DEP_1)
	v_rcp_f32_e32 v4, v3
	s_waitcnt_depctr 0xfff
	v_fma_f32 v5, -v3, v4, 1.0
	v_fmac_f32_e32 v4, v5, v4
	s_delay_alu instid0(VALU_DEP_1) | instskip(NEXT) | instid1(VALU_DEP_1)
	v_mul_f32_e32 v5, v6, v4
	v_fma_f32 v7, -v3, v5, v6
	s_delay_alu instid0(VALU_DEP_1) | instskip(SKIP_1) | instid1(VALU_DEP_2)
	v_fmac_f32_e32 v5, v7, v4
	v_mul_f32_e32 v7, 0x3fb8aa3b, v1
	v_fma_f32 v3, -v3, v5, v6
	v_mul_f32_e32 v6, 0x4f800000, v1
	s_delay_alu instid0(VALU_DEP_3) | instskip(SKIP_1) | instid1(VALU_DEP_4)
	v_rndne_f32_e32 v8, v7
	v_fma_f32 v9, 0x3fb8aa3b, v1, -v7
	v_div_fmas_f32 v3, v3, v4, v5
	v_cmp_gt_f32_e32 vcc_lo, 0xf800000, v1
	s_delay_alu instid0(VALU_DEP_4) | instskip(NEXT) | instid1(VALU_DEP_4)
	v_sub_f32_e32 v7, v7, v8
	v_fmamk_f32 v9, v1, 0x32a5705f, v9
	v_cvt_i32_f32_e32 v8, v8
	v_div_fixup_f32 v3, v3, v1, 0x42000000
	s_delay_alu instid0(VALU_DEP_3) | instskip(NEXT) | instid1(VALU_DEP_2)
	v_dual_cndmask_b32 v6, v1, v6 :: v_dual_add_f32 v7, v7, v9
	v_add_f32_e32 v3, -2.0, v3
	s_delay_alu instid0(VALU_DEP_2) | instskip(NEXT) | instid1(VALU_DEP_2)
	v_sqrt_f32_e32 v10, v6
	v_exp_f32_e32 v7, v7
	s_delay_alu instid0(VALU_DEP_1) | instskip(NEXT) | instid1(VALU_DEP_1)
	v_fmaak_f32 v4, s2, v3, 0xa2b236d3
	v_fmaak_f32 v5, v3, v4, 0x23056dbb
	s_waitcnt_depctr 0xfff
	v_add_nc_u32_e32 v9, -1, v10
	v_add_nc_u32_e32 v11, 1, v10
	v_add_f32_e32 v5, 0x244df0c1, v5
	s_delay_alu instid0(VALU_DEP_3) | instskip(NEXT) | instid1(VALU_DEP_3)
	v_fma_f32 v12, -v9, v10, v6
	v_fma_f32 v13, -v11, v10, v6
	s_delay_alu instid0(VALU_DEP_3) | instskip(NEXT) | instid1(VALU_DEP_3)
	v_fma_f32 v4, v3, v5, -v4
	v_cmp_ge_f32_e64 s2, 0, v12
	s_delay_alu instid0(VALU_DEP_2) | instskip(NEXT) | instid1(VALU_DEP_2)
	v_add_f32_e32 v4, 0x241f9ee8, v4
	v_cndmask_b32_e64 v9, v10, v9, s2
	v_cmp_lt_f32_e64 s2, 0, v13
	s_delay_alu instid0(VALU_DEP_3) | instskip(NEXT) | instid1(VALU_DEP_1)
	v_fma_f32 v5, v3, v4, -v5
	v_add_f32_e32 v5, 0xa5a3005d, v5
	s_delay_alu instid0(VALU_DEP_1) | instskip(NEXT) | instid1(VALU_DEP_1)
	v_fma_f32 v4, v3, v5, -v4
	v_add_f32_e32 v4, 0xa5c5773f, v4
	s_delay_alu instid0(VALU_DEP_1) | instskip(NEXT) | instid1(VALU_DEP_1)
	;; [unrolled: 3-line block ×19, first 2 shown]
	v_fma_f32 v4, v3, v5, -v4
	v_add_f32_e32 v4, 0x3b5ccc65, v4
	s_delay_alu instid0(VALU_DEP_1) | instskip(SKIP_3) | instid1(VALU_DEP_4)
	v_fma_f32 v3, v3, v4, -v5
	v_ldexp_f32 v4, v7, v8
	v_cndmask_b32_e64 v7, v9, v11, s2
	v_cmp_ngt_f32_e64 s2, 0xc2ce8ed0, v1
	v_add_f32_e32 v3, 0x3f4df315, v3
	s_delay_alu instid0(VALU_DEP_3) | instskip(NEXT) | instid1(VALU_DEP_3)
	v_mul_f32_e32 v8, 0x37800000, v7
	v_cndmask_b32_e64 v4, 0, v4, s2
	v_cmp_nlt_f32_e64 s2, 0x42b17218, v1
	s_delay_alu instid0(VALU_DEP_4) | instskip(NEXT) | instid1(VALU_DEP_4)
	v_sub_f32_e32 v3, v3, v5
	v_cndmask_b32_e32 v5, v7, v8, vcc_lo
	v_cmp_class_f32_e64 vcc_lo, v6, 0x260
	s_delay_alu instid0(VALU_DEP_4) | instskip(NEXT) | instid1(VALU_DEP_4)
	v_cndmask_b32_e64 v4, 0x7f800000, v4, s2
	v_mul_f32_e32 v3, 0.5, v3
	s_delay_alu instid0(VALU_DEP_4) | instskip(NEXT) | instid1(VALU_DEP_2)
	v_cndmask_b32_e32 v5, v5, v6, vcc_lo
	v_mul_f32_e32 v3, v4, v3
	s_delay_alu instid0(VALU_DEP_1) | instskip(NEXT) | instid1(VALU_DEP_1)
	v_div_scale_f32 v4, null, v5, v5, v3
	v_rcp_f32_e32 v6, v4
	s_waitcnt_depctr 0xfff
	v_fma_f32 v7, -v4, v6, 1.0
	s_delay_alu instid0(VALU_DEP_1) | instskip(SKIP_1) | instid1(VALU_DEP_1)
	v_fmac_f32_e32 v6, v7, v6
	v_div_scale_f32 v7, vcc_lo, v3, v5, v3
	v_mul_f32_e32 v8, v7, v6
	s_delay_alu instid0(VALU_DEP_1) | instskip(NEXT) | instid1(VALU_DEP_1)
	v_fma_f32 v9, -v4, v8, v7
	v_fmac_f32_e32 v8, v9, v6
	s_delay_alu instid0(VALU_DEP_1) | instskip(NEXT) | instid1(VALU_DEP_1)
	v_fma_f32 v4, -v4, v8, v7
	v_div_fmas_f32 v4, v4, v6, v8
	s_delay_alu instid0(VALU_DEP_1)
	v_div_fixup_f32 v3, v4, v5, v3
.LBB19_158:
	s_or_b32 exec_lo, exec_lo, s31
	v_cvt_f64_f32_e32 v[4:5], v1
	s_mov_b32 s35, 0x3fe55555
	s_mov_b32 s34, 0x55555555
	v_fma_f32 v1, v1, v1, -2.0
	v_mov_b32_e32 v8, 0
	s_mov_b32 s36, 0x6b47b09a
	s_mov_b32 s38, 0xbf559e2b
	;; [unrolled: 1-line block ×5, first 2 shown]
	s_delay_alu instid0(VALU_DEP_3) | instskip(NEXT) | instid1(VALU_DEP_1)
	v_mul_f64 v[4:5], v[4:5], 0.5
	v_frexp_mant_f64_e32 v[6:7], v[4:5]
	s_delay_alu instid0(VALU_DEP_1) | instskip(SKIP_2) | instid1(VALU_DEP_1)
	v_cmp_gt_f64_e32 vcc_lo, s[34:35], v[6:7]
	s_mov_b32 s34, 0x55555780
	v_cndmask_b32_e64 v9, 0x3ff00000, 2.0, vcc_lo
	v_mul_f64 v[6:7], v[6:7], v[8:9]
	s_delay_alu instid0(VALU_DEP_1) | instskip(SKIP_1) | instid1(VALU_DEP_2)
	v_add_f64 v[8:9], v[6:7], 1.0
	v_add_f64 v[14:15], v[6:7], -1.0
	v_rcp_f64_e32 v[10:11], v[8:9]
	v_add_f64 v[16:17], v[8:9], -1.0
	s_delay_alu instid0(VALU_DEP_1) | instskip(SKIP_2) | instid1(VALU_DEP_1)
	v_add_f64 v[6:7], v[6:7], -v[16:17]
	s_waitcnt_depctr 0xfff
	v_fma_f64 v[12:13], -v[8:9], v[10:11], 1.0
	v_fma_f64 v[10:11], v[12:13], v[10:11], v[10:11]
	s_delay_alu instid0(VALU_DEP_1) | instskip(NEXT) | instid1(VALU_DEP_1)
	v_fma_f64 v[12:13], -v[8:9], v[10:11], 1.0
	v_fma_f64 v[10:11], v[12:13], v[10:11], v[10:11]
	s_delay_alu instid0(VALU_DEP_1) | instskip(NEXT) | instid1(VALU_DEP_1)
	v_mul_f64 v[12:13], v[14:15], v[10:11]
	v_mul_f64 v[18:19], v[8:9], v[12:13]
	s_delay_alu instid0(VALU_DEP_1) | instskip(NEXT) | instid1(VALU_DEP_1)
	v_fma_f64 v[8:9], v[12:13], v[8:9], -v[18:19]
	v_fma_f64 v[6:7], v[12:13], v[6:7], v[8:9]
	s_delay_alu instid0(VALU_DEP_1) | instskip(NEXT) | instid1(VALU_DEP_1)
	v_add_f64 v[8:9], v[18:19], v[6:7]
	v_add_f64 v[16:17], v[14:15], -v[8:9]
	v_add_f64 v[18:19], v[8:9], -v[18:19]
	s_delay_alu instid0(VALU_DEP_2) | instskip(NEXT) | instid1(VALU_DEP_2)
	v_add_f64 v[14:15], v[14:15], -v[16:17]
	v_add_f64 v[6:7], v[18:19], -v[6:7]
	v_frexp_exp_i32_f64_e32 v18, v[4:5]
	s_delay_alu instid0(VALU_DEP_3) | instskip(NEXT) | instid1(VALU_DEP_1)
	v_add_f64 v[8:9], v[14:15], -v[8:9]
	v_add_f64 v[6:7], v[6:7], v[8:9]
	s_delay_alu instid0(VALU_DEP_1) | instskip(NEXT) | instid1(VALU_DEP_1)
	v_add_f64 v[6:7], v[16:17], v[6:7]
	v_mul_f64 v[6:7], v[10:11], v[6:7]
	s_delay_alu instid0(VALU_DEP_1) | instskip(NEXT) | instid1(VALU_DEP_1)
	v_add_f64 v[8:9], v[12:13], v[6:7]
	v_mul_f64 v[10:11], v[8:9], v[8:9]
	s_delay_alu instid0(VALU_DEP_1) | instskip(SKIP_3) | instid1(VALU_DEP_2)
	v_fma_f64 v[14:15], v[10:11], s[38:39], s[36:37]
	s_mov_b32 s36, 0xd7f4df2e
	s_mov_b32 s37, 0x3fc7474d
	v_mul_f64 v[16:17], v[8:9], v[10:11]
	v_fma_f64 v[14:15], v[10:11], v[14:15], s[36:37]
	s_mov_b32 s36, 0x16291751
	s_mov_b32 s37, 0x3fcc71c0
	s_delay_alu instid0(VALU_DEP_1) | instid1(SALU_CYCLE_1)
	v_fma_f64 v[14:15], v[10:11], v[14:15], s[36:37]
	s_mov_b32 s36, 0x9b27acf1
	s_mov_b32 s37, 0x3fd24924
	s_delay_alu instid0(VALU_DEP_1) | instid1(SALU_CYCLE_1)
	;; [unrolled: 4-line block ×3, first 2 shown]
	v_fma_f64 v[14:15], v[10:11], v[14:15], s[36:37]
	s_delay_alu instid0(VALU_DEP_1) | instskip(SKIP_4) | instid1(VALU_DEP_3)
	v_fma_f64 v[10:11], v[10:11], v[14:15], s[34:35]
	v_ldexp_f64 v[14:15], v[8:9], 1
	v_add_f64 v[8:9], v[8:9], -v[12:13]
	s_mov_b32 s34, 0xfefa39ef
	s_mov_b32 s35, 0x3fe62e42
	v_mul_f64 v[10:11], v[16:17], v[10:11]
	v_subrev_co_ci_u32_e32 v16, vcc_lo, 0, v18, vcc_lo
	s_delay_alu instid0(VALU_DEP_3) | instskip(SKIP_1) | instid1(VALU_DEP_3)
	v_add_f64 v[6:7], v[6:7], -v[8:9]
	v_cmp_eq_f64_e32 vcc_lo, 0x7ff00000, v[4:5]
	v_cvt_f64_i32_e32 v[16:17], v16
	v_add_f64 v[12:13], v[14:15], v[10:11]
	s_delay_alu instid0(VALU_DEP_4) | instskip(NEXT) | instid1(VALU_DEP_3)
	v_ldexp_f64 v[6:7], v[6:7], 1
	v_mul_f64 v[18:19], v[16:17], s[34:35]
	s_delay_alu instid0(VALU_DEP_3) | instskip(NEXT) | instid1(VALU_DEP_2)
	v_add_f64 v[8:9], v[12:13], -v[14:15]
	v_fma_f64 v[14:15], v[16:17], s[34:35], -v[18:19]
	s_mov_b32 s34, 0x3b39803f
	s_mov_b32 s35, 0x3c7abc9e
	s_delay_alu instid0(VALU_DEP_2) | instskip(NEXT) | instid1(VALU_DEP_2)
	v_add_f64 v[8:9], v[10:11], -v[8:9]
	v_fma_f64 v[10:11], v[16:17], s[34:35], v[14:15]
	s_delay_alu instid0(VALU_DEP_2) | instskip(NEXT) | instid1(VALU_DEP_2)
	v_add_f64 v[6:7], v[6:7], v[8:9]
	v_add_f64 v[8:9], v[18:19], v[10:11]
	s_delay_alu instid0(VALU_DEP_2) | instskip(NEXT) | instid1(VALU_DEP_2)
	v_add_f64 v[14:15], v[12:13], v[6:7]
	v_add_f64 v[18:19], v[8:9], -v[18:19]
	s_delay_alu instid0(VALU_DEP_2) | instskip(SKIP_1) | instid1(VALU_DEP_3)
	v_add_f64 v[16:17], v[8:9], v[14:15]
	v_add_f64 v[12:13], v[14:15], -v[12:13]
	v_add_f64 v[10:11], v[10:11], -v[18:19]
	s_delay_alu instid0(VALU_DEP_3) | instskip(NEXT) | instid1(VALU_DEP_3)
	v_add_f64 v[20:21], v[16:17], -v[8:9]
	v_add_f64 v[6:7], v[6:7], -v[12:13]
	s_delay_alu instid0(VALU_DEP_2) | instskip(SKIP_1) | instid1(VALU_DEP_3)
	v_add_f64 v[22:23], v[16:17], -v[20:21]
	v_add_f64 v[12:13], v[14:15], -v[20:21]
	v_add_f64 v[14:15], v[10:11], v[6:7]
	s_delay_alu instid0(VALU_DEP_3) | instskip(NEXT) | instid1(VALU_DEP_1)
	v_add_f64 v[8:9], v[8:9], -v[22:23]
	v_add_f64 v[8:9], v[12:13], v[8:9]
	s_delay_alu instid0(VALU_DEP_3) | instskip(NEXT) | instid1(VALU_DEP_2)
	v_add_f64 v[12:13], v[14:15], -v[10:11]
	v_add_f64 v[8:9], v[14:15], v[8:9]
	s_delay_alu instid0(VALU_DEP_2) | instskip(SKIP_1) | instid1(VALU_DEP_3)
	v_add_f64 v[14:15], v[14:15], -v[12:13]
	v_add_f64 v[6:7], v[6:7], -v[12:13]
	v_add_f64 v[18:19], v[16:17], v[8:9]
	s_delay_alu instid0(VALU_DEP_3) | instskip(NEXT) | instid1(VALU_DEP_2)
	v_add_f64 v[10:11], v[10:11], -v[14:15]
	v_add_f64 v[12:13], v[18:19], -v[16:17]
	s_delay_alu instid0(VALU_DEP_2) | instskip(SKIP_1) | instid1(VALU_DEP_1)
	v_add_f64 v[6:7], v[6:7], v[10:11]
	v_fmaak_f32 v10, s2, v1, 0x293fd856
	v_fmaak_f32 v11, v1, v10, 0xa51e770f
	s_delay_alu instid0(VALU_DEP_4) | instskip(NEXT) | instid1(VALU_DEP_1)
	v_add_f64 v[8:9], v[8:9], -v[12:13]
	v_add_f64 v[6:7], v[6:7], v[8:9]
	s_delay_alu instid0(VALU_DEP_1) | instskip(NEXT) | instid1(VALU_DEP_4)
	v_add_f64 v[6:7], v[18:19], v[6:7]
	v_add_f32_e32 v11, 0x2d3612e2, v11
	s_delay_alu instid0(VALU_DEP_1) | instskip(NEXT) | instid1(VALU_DEP_1)
	v_fma_f32 v8, v1, v11, -v10
	v_add_f32_e32 v8, 0x3102e09b, v8
	s_delay_alu instid0(VALU_DEP_1) | instskip(NEXT) | instid1(VALU_DEP_1)
	v_fma_f32 v9, v1, v8, -v11
	;; [unrolled: 3-line block ×6, first 2 shown]
	v_add_f32_e32 v9, 0x3eb046c4, v9
	s_delay_alu instid0(VALU_DEP_1) | instskip(SKIP_1) | instid1(VALU_DEP_2)
	v_fma_f32 v1, v1, v9, -v8
	v_cndmask_b32_e32 v9, v7, v5, vcc_lo
	v_add_f32_e32 v1, 0xbf090b37, v1
	s_delay_alu instid0(VALU_DEP_1) | instskip(SKIP_3) | instid1(VALU_DEP_4)
	v_sub_f32_e32 v1, v1, v8
	v_cndmask_b32_e32 v8, v6, v4, vcc_lo
	v_cmp_neq_f64_e32 vcc_lo, 0, v[4:5]
	v_cvt_f64_f32_e32 v[6:7], v3
	v_mul_f32_e32 v1, 0.5, v1
	s_delay_alu instid0(VALU_DEP_1) | instskip(SKIP_2) | instid1(VALU_DEP_1)
	v_cvt_f64_f32_e32 v[4:5], v1
                                        ; implicit-def: $vgpr1
	v_cndmask_b32_e32 v9, 0xfff00000, v9, vcc_lo
	v_cndmask_b32_e32 v8, 0, v8, vcc_lo
	v_fma_f64 v[3:4], -v[8:9], v[6:7], v[4:5]
	s_delay_alu instid0(VALU_DEP_1)
	v_cvt_f32_f64_e32 v3, v[3:4]
.LBB19_159:
	s_and_not1_saveexec_b32 s21, s21
	s_cbranch_execz .LBB19_161
; %bb.160:
	v_div_scale_f32 v3, null, v1, v1, 0x41000000
	v_div_scale_f32 v6, vcc_lo, 0x41000000, v1, 0x41000000
	s_mov_b32 s2, 0x22c38d2e
	s_delay_alu instid0(VALU_DEP_2) | instskip(SKIP_2) | instid1(VALU_DEP_1)
	v_rcp_f32_e32 v4, v3
	s_waitcnt_depctr 0xfff
	v_fma_f32 v5, -v3, v4, 1.0
	v_fmac_f32_e32 v4, v5, v4
	s_delay_alu instid0(VALU_DEP_1) | instskip(NEXT) | instid1(VALU_DEP_1)
	v_mul_f32_e32 v5, v6, v4
	v_fma_f32 v7, -v3, v5, v6
	s_delay_alu instid0(VALU_DEP_1) | instskip(SKIP_1) | instid1(VALU_DEP_2)
	v_fmac_f32_e32 v5, v7, v4
	v_mul_f32_e32 v7, 0xbfb8aa3b, v1
	v_fma_f32 v3, -v3, v5, v6
	v_mul_f32_e32 v6, 0x4f800000, v1
	s_delay_alu instid0(VALU_DEP_3) | instskip(SKIP_1) | instid1(VALU_DEP_4)
	v_rndne_f32_e32 v8, v7
	v_fma_f32 v9, 0xbfb8aa3b, v1, -v7
	v_div_fmas_f32 v3, v3, v4, v5
	v_cmp_gt_f32_e32 vcc_lo, 0xf800000, v1
	s_delay_alu instid0(VALU_DEP_4) | instskip(NEXT) | instid1(VALU_DEP_4)
	v_sub_f32_e32 v7, v7, v8
	v_fmamk_f32 v9, v1, 0xb2a5705f, v9
	v_cvt_i32_f32_e32 v8, v8
	v_div_fixup_f32 v3, v3, v1, 0x41000000
	s_delay_alu instid0(VALU_DEP_3) | instskip(NEXT) | instid1(VALU_DEP_2)
	v_dual_cndmask_b32 v6, v1, v6 :: v_dual_add_f32 v7, v7, v9
	v_add_f32_e32 v3, -2.0, v3
	s_delay_alu instid0(VALU_DEP_2) | instskip(NEXT) | instid1(VALU_DEP_2)
	v_sqrt_f32_e32 v10, v6
	v_exp_f32_e32 v7, v7
	s_delay_alu instid0(VALU_DEP_1) | instskip(NEXT) | instid1(VALU_DEP_1)
	v_fmaak_f32 v4, s2, v3, 0xa397f665
	v_fmaak_f32 v5, v3, v4, 0xa2c38d2e
	s_waitcnt_depctr 0xfff
	v_add_nc_u32_e32 v9, -1, v10
	v_add_nc_u32_e32 v11, 1, v10
	v_add_f32_e32 v5, 0x24704972, v5
	s_delay_alu instid0(VALU_DEP_3) | instskip(NEXT) | instid1(VALU_DEP_3)
	v_fma_f32 v12, -v9, v10, v6
	v_fma_f32 v13, -v11, v10, v6
	s_delay_alu instid0(VALU_DEP_3) | instskip(NEXT) | instid1(VALU_DEP_3)
	v_fma_f32 v4, v3, v5, -v4
	v_cmp_ge_f32_e64 s2, 0, v12
	s_delay_alu instid0(VALU_DEP_2) | instskip(NEXT) | instid1(VALU_DEP_2)
	v_add_f32_e32 v4, 0xa5417ca4, v4
	v_cndmask_b32_e64 v9, v10, v9, s2
	v_cmp_lt_f32_e64 s2, 0, v13
	s_delay_alu instid0(VALU_DEP_3) | instskip(NEXT) | instid1(VALU_DEP_1)
	v_fma_f32 v5, v3, v4, -v5
	v_add_f32_e32 v5, 0x261edfcb, v5
	s_delay_alu instid0(VALU_DEP_1) | instskip(NEXT) | instid1(VALU_DEP_1)
	v_fma_f32 v4, v3, v5, -v4
	v_add_f32_e32 v4, 0xa7053487, v4
	s_delay_alu instid0(VALU_DEP_1) | instskip(NEXT) | instid1(VALU_DEP_1)
	;; [unrolled: 3-line block ×19, first 2 shown]
	v_fma_f32 v4, v3, v5, -v4
	v_add_f32_e32 v4, 0xbd00cfb9, v4
	s_delay_alu instid0(VALU_DEP_1) | instskip(SKIP_3) | instid1(VALU_DEP_4)
	v_fma_f32 v3, v3, v4, -v5
	v_ldexp_f32 v4, v7, v8
	v_cndmask_b32_e64 v7, v9, v11, s2
	v_cmp_nlt_f32_e64 s2, 0x42ce8ed0, v1
	v_add_f32_e32 v3, 0x401c2ded, v3
	s_delay_alu instid0(VALU_DEP_3) | instskip(NEXT) | instid1(VALU_DEP_3)
	v_mul_f32_e32 v8, 0x37800000, v7
	v_cndmask_b32_e64 v4, 0, v4, s2
	v_cmp_ngt_f32_e64 s2, 0xc2b17218, v1
	s_delay_alu instid0(VALU_DEP_4) | instskip(NEXT) | instid1(VALU_DEP_2)
	v_sub_f32_e32 v3, v3, v5
	v_cndmask_b32_e64 v1, 0x7f800000, v4, s2
	s_delay_alu instid0(VALU_DEP_2) | instskip(SKIP_1) | instid1(VALU_DEP_2)
	v_dual_cndmask_b32 v4, v7, v8 :: v_dual_mul_f32 v3, 0.5, v3
	v_cmp_class_f32_e64 vcc_lo, v6, 0x260
	v_dual_mul_f32 v1, v1, v3 :: v_dual_cndmask_b32 v4, v4, v6
	s_delay_alu instid0(VALU_DEP_1) | instskip(NEXT) | instid1(VALU_DEP_1)
	v_div_scale_f32 v3, null, v4, v4, v1
	v_rcp_f32_e32 v5, v3
	s_waitcnt_depctr 0xfff
	v_fma_f32 v6, -v3, v5, 1.0
	s_delay_alu instid0(VALU_DEP_1) | instskip(SKIP_1) | instid1(VALU_DEP_1)
	v_fmac_f32_e32 v5, v6, v5
	v_div_scale_f32 v6, vcc_lo, v1, v4, v1
	v_mul_f32_e32 v7, v6, v5
	s_delay_alu instid0(VALU_DEP_1) | instskip(NEXT) | instid1(VALU_DEP_1)
	v_fma_f32 v8, -v3, v7, v6
	v_fmac_f32_e32 v7, v8, v5
	s_delay_alu instid0(VALU_DEP_1) | instskip(NEXT) | instid1(VALU_DEP_1)
	v_fma_f32 v3, -v3, v7, v6
	v_div_fmas_f32 v3, v3, v5, v7
	s_delay_alu instid0(VALU_DEP_1)
	v_div_fixup_f32 v3, v3, v4, v1
.LBB19_161:
	s_or_b32 exec_lo, exec_lo, s21
.LBB19_162:
	s_delay_alu instid0(SALU_CYCLE_1)
	s_or_b32 exec_lo, exec_lo, s20
.LBB19_163:
	s_delay_alu instid0(SALU_CYCLE_1) | instskip(SKIP_3) | instid1(SALU_CYCLE_1)
	s_or_b32 exec_lo, exec_lo, s3
	v_add_nc_u32_e32 v2, 0x80, v2
	global_store_b32 v0, v3, s[4:5]
	s_or_b32 exec_lo, exec_lo, s30
	s_mov_b32 s30, exec_lo
	v_cmpx_gt_i32_e64 s27, v2
	s_cbranch_execnz .LBB19_138
.LBB19_164:
	s_or_b32 exec_lo, exec_lo, s30
	s_delay_alu instid0(SALU_CYCLE_1)
	s_mov_b32 s20, exec_lo
	v_cmpx_gt_i32_e64 s27, v2
	s_cbranch_execnz .LBB19_187
.LBB19_165:
	s_or_b32 exec_lo, exec_lo, s20
                                        ; implicit-def: $vgpr8
                                        ; implicit-def: $vgpr2
	s_and_not1_saveexec_b32 s2, s25
	s_cbranch_execnz .LBB19_8
.LBB19_166:
	s_nop 0
	s_sendmsg sendmsg(MSG_DEALLOC_VGPRS)
	s_endpgm
.LBB19_167:
	v_mov_b32_e32 v3, v2
	v_mov_b32_e32 v1, 0
.LBB19_168:
	s_and_b32 s34, s34, 3
	s_delay_alu instid0(SALU_CYCLE_1)
	s_cmp_eq_u32 s34, 0
	s_cbranch_scc1 .LBB19_171
; %bb.169:
	s_lshl_b32 s2, s33, 3
	s_mul_i32 s20, s33, 12
	s_add_u32 s2, s2, s0
	s_addc_u32 s3, s1, 0
	s_add_u32 s2, s2, 0xc4
	s_addc_u32 s3, s3, 0
	;; [unrolled: 2-line block ×3, first 2 shown]
	.p2align	6
.LBB19_170:                             ; =>This Inner Loop Header: Depth=1
	s_clause 0x1
	s_load_b64 s[36:37], s[20:21], 0x4
	s_load_b32 s33, s[20:21], 0xc
	s_load_b64 s[38:39], s[2:3], 0x0
	s_add_u32 s20, s20, 12
	s_addc_u32 s21, s21, 0
	s_add_u32 s2, s2, 8
	s_addc_u32 s3, s3, 0
	s_add_i32 s34, s34, -1
	s_delay_alu instid0(SALU_CYCLE_1) | instskip(SKIP_2) | instid1(VALU_DEP_1)
	s_cmp_lg_u32 s34, 0
	s_waitcnt lgkmcnt(0)
	v_mul_hi_u32 v4, s37, v3
	v_add_nc_u32_e32 v4, v3, v4
	s_delay_alu instid0(VALU_DEP_1) | instskip(NEXT) | instid1(VALU_DEP_1)
	v_lshrrev_b32_e32 v7, s33, v4
	v_mul_lo_u32 v4, v7, s36
	s_delay_alu instid0(VALU_DEP_1) | instskip(NEXT) | instid1(VALU_DEP_1)
	v_sub_nc_u32_e32 v3, v3, v4
	v_mad_u64_u32 v[4:5], null, v3, s38, v[0:1]
	v_mad_u64_u32 v[5:6], null, v3, s39, v[1:2]
	s_delay_alu instid0(VALU_DEP_2) | instskip(NEXT) | instid1(VALU_DEP_2)
	v_dual_mov_b32 v3, v7 :: v_dual_mov_b32 v0, v4
	v_mov_b32_e32 v1, v5
	s_cbranch_scc1 .LBB19_170
.LBB19_171:
	s_and_not1_b32 vcc_lo, exec_lo, s31
	s_cbranch_vccnz .LBB19_174
; %bb.172:
	s_waitcnt lgkmcnt(0)
	v_mul_hi_u32 v0, s13, v2
	s_and_not1_b32 vcc_lo, exec_lo, s26
	s_delay_alu instid0(VALU_DEP_1) | instskip(NEXT) | instid1(VALU_DEP_1)
	v_add_nc_u32_e32 v0, v2, v0
	v_lshrrev_b32_e32 v3, s14, v0
	s_delay_alu instid0(VALU_DEP_1) | instskip(NEXT) | instid1(VALU_DEP_1)
	v_mul_lo_u32 v0, v3, s12
	v_sub_nc_u32_e32 v1, v2, v0
	s_delay_alu instid0(VALU_DEP_1)
	v_mul_lo_u32 v0, v1, s8
	v_mul_lo_u32 v1, v1, s9
	s_cbranch_vccnz .LBB19_174
; %bb.173:
	v_mul_hi_u32 v4, s16, v3
	s_delay_alu instid0(VALU_DEP_1) | instskip(NEXT) | instid1(VALU_DEP_1)
	v_add_nc_u32_e32 v4, v3, v4
	v_lshrrev_b32_e32 v4, s17, v4
	s_delay_alu instid0(VALU_DEP_1) | instskip(NEXT) | instid1(VALU_DEP_1)
	v_mul_lo_u32 v4, v4, s15
	v_sub_nc_u32_e32 v6, v3, v4
	s_delay_alu instid0(VALU_DEP_1) | instskip(SKIP_1) | instid1(VALU_DEP_1)
	v_mad_u64_u32 v[3:4], null, v6, s10, v[0:1]
	v_mad_u64_u32 v[4:5], null, v6, s11, v[1:2]
	v_dual_mov_b32 v0, v3 :: v_dual_mov_b32 v1, v4
.LBB19_174:
	s_waitcnt lgkmcnt(0)
	global_load_b32 v1, v1, s[6:7]
	v_mov_b32_e32 v3, 0x7f800000
	s_mov_b32 s3, exec_lo
	s_waitcnt vmcnt(0)
	v_cmpx_neq_f32_e32 0, v1
	s_cbranch_execz .LBB19_186
; %bb.175:
	v_mov_b32_e32 v3, 0x7fc00000
	s_mov_b32 s20, exec_lo
	v_cmpx_ngt_f32_e32 0, v1
	s_cbranch_execz .LBB19_185
; %bb.176:
                                        ; implicit-def: $vgpr3
	s_mov_b32 s2, exec_lo
	v_cmpx_ge_f32_e32 2.0, v1
	s_xor_b32 s21, exec_lo, s2
	s_cbranch_execz .LBB19_182
; %bb.177:
	s_mov_b32 s2, exec_lo
                                        ; implicit-def: $vgpr3
	v_cmpx_ge_f32_e32 0x41000000, v1
	s_xor_b32 s2, exec_lo, s2
	s_cbranch_execz .LBB19_179
; %bb.178:
	v_fma_f32 v3, v1, 0.5, -2.0
	s_mov_b32 s31, 0xa2a2e5b9
	v_mul_f32_e32 v6, 0x3fb8aa3b, v1
	v_cmp_ngt_f32_e32 vcc_lo, 0xc2ce8ed0, v1
	s_delay_alu instid0(VALU_DEP_3) | instskip(NEXT) | instid1(VALU_DEP_3)
	v_fmaak_f32 v4, s31, v3, 0x24199b15
	v_rndne_f32_e32 v7, v6
	v_fma_f32 v8, 0x3fb8aa3b, v1, -v6
	s_delay_alu instid0(VALU_DEP_2) | instskip(NEXT) | instid1(VALU_DEP_2)
	v_dual_fmaak_f32 v5, v3, v4, 0x22a2e5b9 :: v_dual_sub_f32 v6, v6, v7
	v_fmamk_f32 v8, v1, 0x32a5705f, v8
	v_cvt_i32_f32_e32 v7, v7
	s_delay_alu instid0(VALU_DEP_2) | instskip(NEXT) | instid1(VALU_DEP_1)
	v_dual_add_f32 v5, 0xa58c275c, v5 :: v_dual_add_f32 v6, v6, v8
	v_fma_f32 v4, v3, v5, -v4
	s_delay_alu instid0(VALU_DEP_2) | instskip(NEXT) | instid1(VALU_DEP_1)
	v_exp_f32_e32 v6, v6
	v_add_f32_e32 v4, 0x26f736c5, v4
	s_delay_alu instid0(VALU_DEP_1) | instskip(NEXT) | instid1(VALU_DEP_1)
	v_fma_f32 v5, v3, v4, -v5
	v_add_f32_e32 v5, 0xa8528116, v5
	s_delay_alu instid0(VALU_DEP_1) | instskip(NEXT) | instid1(VALU_DEP_1)
	v_fma_f32 v4, v3, v5, -v4
	;; [unrolled: 3-line block ×25, first 2 shown]
	v_add_f32_e32 v5, 0xbe9bff5e, v5
	s_delay_alu instid0(VALU_DEP_1) | instskip(SKIP_1) | instid1(VALU_DEP_2)
	v_fma_f32 v3, v3, v5, -v4
	v_ldexp_f32 v5, v6, v7
	v_add_f32_e32 v3, 0x3f2d4275, v3
	s_delay_alu instid0(VALU_DEP_2) | instskip(SKIP_1) | instid1(VALU_DEP_2)
	v_cndmask_b32_e32 v5, 0, v5, vcc_lo
	v_cmp_nlt_f32_e32 vcc_lo, 0x42b17218, v1
	v_dual_sub_f32 v3, v3, v4 :: v_dual_cndmask_b32 v4, 0x7f800000, v5
	s_delay_alu instid0(VALU_DEP_1) | instskip(NEXT) | instid1(VALU_DEP_1)
	v_mul_f32_e32 v3, 0.5, v3
	v_mul_f32_e32 v3, v4, v3
.LBB19_179:
	s_and_not1_saveexec_b32 s31, s2
	s_cbranch_execz .LBB19_181
; %bb.180:
	v_div_scale_f32 v3, null, v1, v1, 0x42000000
	v_div_scale_f32 v6, vcc_lo, 0x42000000, v1, 0x42000000
	s_mov_b32 s2, 0xa3056dbb
	s_delay_alu instid0(VALU_DEP_2) | instskip(SKIP_2) | instid1(VALU_DEP_1)
	v_rcp_f32_e32 v4, v3
	s_waitcnt_depctr 0xfff
	v_fma_f32 v5, -v3, v4, 1.0
	v_fmac_f32_e32 v4, v5, v4
	s_delay_alu instid0(VALU_DEP_1) | instskip(NEXT) | instid1(VALU_DEP_1)
	v_mul_f32_e32 v5, v6, v4
	v_fma_f32 v7, -v3, v5, v6
	s_delay_alu instid0(VALU_DEP_1) | instskip(SKIP_1) | instid1(VALU_DEP_2)
	v_fmac_f32_e32 v5, v7, v4
	v_mul_f32_e32 v7, 0x3fb8aa3b, v1
	v_fma_f32 v3, -v3, v5, v6
	v_mul_f32_e32 v6, 0x4f800000, v1
	s_delay_alu instid0(VALU_DEP_3) | instskip(SKIP_1) | instid1(VALU_DEP_4)
	v_rndne_f32_e32 v8, v7
	v_fma_f32 v9, 0x3fb8aa3b, v1, -v7
	v_div_fmas_f32 v3, v3, v4, v5
	v_cmp_gt_f32_e32 vcc_lo, 0xf800000, v1
	s_delay_alu instid0(VALU_DEP_4) | instskip(NEXT) | instid1(VALU_DEP_4)
	v_sub_f32_e32 v7, v7, v8
	v_fmamk_f32 v9, v1, 0x32a5705f, v9
	v_cvt_i32_f32_e32 v8, v8
	v_div_fixup_f32 v3, v3, v1, 0x42000000
	s_delay_alu instid0(VALU_DEP_3) | instskip(NEXT) | instid1(VALU_DEP_2)
	v_dual_cndmask_b32 v6, v1, v6 :: v_dual_add_f32 v7, v7, v9
	v_add_f32_e32 v3, -2.0, v3
	s_delay_alu instid0(VALU_DEP_2) | instskip(NEXT) | instid1(VALU_DEP_2)
	v_sqrt_f32_e32 v10, v6
	v_exp_f32_e32 v7, v7
	s_delay_alu instid0(VALU_DEP_1) | instskip(NEXT) | instid1(VALU_DEP_1)
	v_fmaak_f32 v4, s2, v3, 0xa2b236d3
	v_fmaak_f32 v5, v3, v4, 0x23056dbb
	s_waitcnt_depctr 0xfff
	v_add_nc_u32_e32 v9, -1, v10
	v_add_nc_u32_e32 v11, 1, v10
	v_add_f32_e32 v5, 0x244df0c1, v5
	s_delay_alu instid0(VALU_DEP_3) | instskip(NEXT) | instid1(VALU_DEP_3)
	v_fma_f32 v12, -v9, v10, v6
	v_fma_f32 v13, -v11, v10, v6
	s_delay_alu instid0(VALU_DEP_3) | instskip(NEXT) | instid1(VALU_DEP_3)
	v_fma_f32 v4, v3, v5, -v4
	v_cmp_ge_f32_e64 s2, 0, v12
	s_delay_alu instid0(VALU_DEP_2) | instskip(NEXT) | instid1(VALU_DEP_2)
	v_add_f32_e32 v4, 0x241f9ee8, v4
	v_cndmask_b32_e64 v9, v10, v9, s2
	v_cmp_lt_f32_e64 s2, 0, v13
	s_delay_alu instid0(VALU_DEP_3) | instskip(NEXT) | instid1(VALU_DEP_1)
	v_fma_f32 v5, v3, v4, -v5
	v_add_f32_e32 v5, 0xa5a3005d, v5
	s_delay_alu instid0(VALU_DEP_1) | instskip(NEXT) | instid1(VALU_DEP_1)
	v_fma_f32 v4, v3, v5, -v4
	v_add_f32_e32 v4, 0xa5c5773f, v4
	s_delay_alu instid0(VALU_DEP_1) | instskip(NEXT) | instid1(VALU_DEP_1)
	v_fma_f32 v5, v3, v4, -v5
	v_add_f32_e32 v5, 0x26ff73ed, v5
	s_delay_alu instid0(VALU_DEP_1) | instskip(NEXT) | instid1(VALU_DEP_1)
	v_fma_f32 v4, v3, v5, -v4
	v_add_f32_e32 v4, 0x2789548d, v4
	s_delay_alu instid0(VALU_DEP_1) | instskip(NEXT) | instid1(VALU_DEP_1)
	v_fma_f32 v5, v3, v4, -v5
	v_add_f32_e32 v5, 0xa82c1ff4, v5
	s_delay_alu instid0(VALU_DEP_1) | instskip(NEXT) | instid1(VALU_DEP_1)
	v_fma_f32 v4, v3, v5, -v4
	v_add_f32_e32 v4, 0xa93aecce, v4
	s_delay_alu instid0(VALU_DEP_1) | instskip(NEXT) | instid1(VALU_DEP_1)
	v_fma_f32 v5, v3, v4, -v5
	v_add_f32_e32 v5, 0x288ab7f8, v5
	s_delay_alu instid0(VALU_DEP_1) | instskip(NEXT) | instid1(VALU_DEP_1)
	v_fma_f32 v4, v3, v5, -v4
	v_add_f32_e32 v4, 0x2ad8e463, v4
	s_delay_alu instid0(VALU_DEP_1) | instskip(NEXT) | instid1(VALU_DEP_1)
	v_fma_f32 v5, v3, v4, -v5
	v_add_f32_e32 v5, 0x2b4a1a40, v5
	s_delay_alu instid0(VALU_DEP_1) | instskip(NEXT) | instid1(VALU_DEP_1)
	v_fma_f32 v4, v3, v5, -v4
	v_add_f32_e32 v4, 0xabfc8218, v4
	s_delay_alu instid0(VALU_DEP_1) | instskip(NEXT) | instid1(VALU_DEP_1)
	v_fma_f32 v5, v3, v4, -v5
	v_add_f32_e32 v5, 0xad687eba, v5
	s_delay_alu instid0(VALU_DEP_1) | instskip(NEXT) | instid1(VALU_DEP_1)
	v_fma_f32 v4, v3, v5, -v4
	v_add_f32_e32 v4, 0xae0a88e8, v4
	s_delay_alu instid0(VALU_DEP_1) | instskip(NEXT) | instid1(VALU_DEP_1)
	v_fma_f32 v5, v3, v4, -v5
	v_add_f32_e32 v5, 0x2d5127f5, v5
	s_delay_alu instid0(VALU_DEP_1) | instskip(NEXT) | instid1(VALU_DEP_1)
	v_fma_f32 v4, v3, v5, -v4
	v_add_f32_e32 v4, 0x3007ce66, v4
	s_delay_alu instid0(VALU_DEP_1) | instskip(NEXT) | instid1(VALU_DEP_1)
	v_fma_f32 v5, v3, v4, -v5
	v_add_f32_e32 v5, 0x31696325, v5
	s_delay_alu instid0(VALU_DEP_1) | instskip(NEXT) | instid1(VALU_DEP_1)
	v_fma_f32 v4, v3, v5, -v4
	v_add_f32_e32 v4, 0x32c2b494, v4
	s_delay_alu instid0(VALU_DEP_1) | instskip(NEXT) | instid1(VALU_DEP_1)
	v_fma_f32 v5, v3, v4, -v5
	v_add_f32_e32 v5, 0x345c003f, v5
	s_delay_alu instid0(VALU_DEP_1) | instskip(NEXT) | instid1(VALU_DEP_1)
	v_fma_f32 v4, v3, v5, -v4
	v_add_f32_e32 v4, 0x3642095e, v4
	s_delay_alu instid0(VALU_DEP_1) | instskip(NEXT) | instid1(VALU_DEP_1)
	v_fma_f32 v5, v3, v4, -v5
	v_add_f32_e32 v5, 0x38907d1c, v5
	s_delay_alu instid0(VALU_DEP_1) | instskip(NEXT) | instid1(VALU_DEP_1)
	v_fma_f32 v4, v3, v5, -v4
	v_add_f32_e32 v4, 0x3b5ccc65, v4
	s_delay_alu instid0(VALU_DEP_1) | instskip(SKIP_3) | instid1(VALU_DEP_4)
	v_fma_f32 v3, v3, v4, -v5
	v_ldexp_f32 v4, v7, v8
	v_cndmask_b32_e64 v7, v9, v11, s2
	v_cmp_ngt_f32_e64 s2, 0xc2ce8ed0, v1
	v_add_f32_e32 v3, 0x3f4df315, v3
	s_delay_alu instid0(VALU_DEP_3) | instskip(NEXT) | instid1(VALU_DEP_3)
	v_mul_f32_e32 v8, 0x37800000, v7
	v_cndmask_b32_e64 v4, 0, v4, s2
	v_cmp_nlt_f32_e64 s2, 0x42b17218, v1
	s_delay_alu instid0(VALU_DEP_4) | instskip(NEXT) | instid1(VALU_DEP_4)
	v_sub_f32_e32 v3, v3, v5
	v_cndmask_b32_e32 v5, v7, v8, vcc_lo
	v_cmp_class_f32_e64 vcc_lo, v6, 0x260
	s_delay_alu instid0(VALU_DEP_4) | instskip(NEXT) | instid1(VALU_DEP_4)
	v_cndmask_b32_e64 v4, 0x7f800000, v4, s2
	v_mul_f32_e32 v3, 0.5, v3
	s_delay_alu instid0(VALU_DEP_4) | instskip(NEXT) | instid1(VALU_DEP_2)
	v_cndmask_b32_e32 v5, v5, v6, vcc_lo
	v_mul_f32_e32 v3, v4, v3
	s_delay_alu instid0(VALU_DEP_1) | instskip(NEXT) | instid1(VALU_DEP_1)
	v_div_scale_f32 v4, null, v5, v5, v3
	v_rcp_f32_e32 v6, v4
	s_waitcnt_depctr 0xfff
	v_fma_f32 v7, -v4, v6, 1.0
	s_delay_alu instid0(VALU_DEP_1) | instskip(SKIP_1) | instid1(VALU_DEP_1)
	v_fmac_f32_e32 v6, v7, v6
	v_div_scale_f32 v7, vcc_lo, v3, v5, v3
	v_mul_f32_e32 v8, v7, v6
	s_delay_alu instid0(VALU_DEP_1) | instskip(NEXT) | instid1(VALU_DEP_1)
	v_fma_f32 v9, -v4, v8, v7
	v_fmac_f32_e32 v8, v9, v6
	s_delay_alu instid0(VALU_DEP_1) | instskip(NEXT) | instid1(VALU_DEP_1)
	v_fma_f32 v4, -v4, v8, v7
	v_div_fmas_f32 v4, v4, v6, v8
	s_delay_alu instid0(VALU_DEP_1)
	v_div_fixup_f32 v3, v4, v5, v3
.LBB19_181:
	s_or_b32 exec_lo, exec_lo, s31
	v_cvt_f64_f32_e32 v[4:5], v1
	s_mov_b32 s35, 0x3fe55555
	s_mov_b32 s34, 0x55555555
	v_fma_f32 v1, v1, v1, -2.0
	v_mov_b32_e32 v8, 0
	s_mov_b32 s36, 0x6b47b09a
	s_mov_b32 s38, 0xbf559e2b
	;; [unrolled: 1-line block ×5, first 2 shown]
	s_delay_alu instid0(VALU_DEP_3) | instskip(NEXT) | instid1(VALU_DEP_1)
	v_mul_f64 v[4:5], v[4:5], 0.5
	v_frexp_mant_f64_e32 v[6:7], v[4:5]
	s_delay_alu instid0(VALU_DEP_1) | instskip(SKIP_2) | instid1(VALU_DEP_1)
	v_cmp_gt_f64_e32 vcc_lo, s[34:35], v[6:7]
	s_mov_b32 s34, 0x55555780
	v_cndmask_b32_e64 v9, 0x3ff00000, 2.0, vcc_lo
	v_mul_f64 v[6:7], v[6:7], v[8:9]
	s_delay_alu instid0(VALU_DEP_1) | instskip(SKIP_1) | instid1(VALU_DEP_2)
	v_add_f64 v[8:9], v[6:7], 1.0
	v_add_f64 v[14:15], v[6:7], -1.0
	v_rcp_f64_e32 v[10:11], v[8:9]
	v_add_f64 v[16:17], v[8:9], -1.0
	s_delay_alu instid0(VALU_DEP_1) | instskip(SKIP_2) | instid1(VALU_DEP_1)
	v_add_f64 v[6:7], v[6:7], -v[16:17]
	s_waitcnt_depctr 0xfff
	v_fma_f64 v[12:13], -v[8:9], v[10:11], 1.0
	v_fma_f64 v[10:11], v[12:13], v[10:11], v[10:11]
	s_delay_alu instid0(VALU_DEP_1) | instskip(NEXT) | instid1(VALU_DEP_1)
	v_fma_f64 v[12:13], -v[8:9], v[10:11], 1.0
	v_fma_f64 v[10:11], v[12:13], v[10:11], v[10:11]
	s_delay_alu instid0(VALU_DEP_1) | instskip(NEXT) | instid1(VALU_DEP_1)
	v_mul_f64 v[12:13], v[14:15], v[10:11]
	v_mul_f64 v[18:19], v[8:9], v[12:13]
	s_delay_alu instid0(VALU_DEP_1) | instskip(NEXT) | instid1(VALU_DEP_1)
	v_fma_f64 v[8:9], v[12:13], v[8:9], -v[18:19]
	v_fma_f64 v[6:7], v[12:13], v[6:7], v[8:9]
	s_delay_alu instid0(VALU_DEP_1) | instskip(NEXT) | instid1(VALU_DEP_1)
	v_add_f64 v[8:9], v[18:19], v[6:7]
	v_add_f64 v[16:17], v[14:15], -v[8:9]
	v_add_f64 v[18:19], v[8:9], -v[18:19]
	s_delay_alu instid0(VALU_DEP_2) | instskip(NEXT) | instid1(VALU_DEP_2)
	v_add_f64 v[14:15], v[14:15], -v[16:17]
	v_add_f64 v[6:7], v[18:19], -v[6:7]
	v_frexp_exp_i32_f64_e32 v18, v[4:5]
	s_delay_alu instid0(VALU_DEP_3) | instskip(NEXT) | instid1(VALU_DEP_1)
	v_add_f64 v[8:9], v[14:15], -v[8:9]
	v_add_f64 v[6:7], v[6:7], v[8:9]
	s_delay_alu instid0(VALU_DEP_1) | instskip(NEXT) | instid1(VALU_DEP_1)
	v_add_f64 v[6:7], v[16:17], v[6:7]
	v_mul_f64 v[6:7], v[10:11], v[6:7]
	s_delay_alu instid0(VALU_DEP_1) | instskip(NEXT) | instid1(VALU_DEP_1)
	v_add_f64 v[8:9], v[12:13], v[6:7]
	v_mul_f64 v[10:11], v[8:9], v[8:9]
	s_delay_alu instid0(VALU_DEP_1) | instskip(SKIP_3) | instid1(VALU_DEP_2)
	v_fma_f64 v[14:15], v[10:11], s[38:39], s[36:37]
	s_mov_b32 s36, 0xd7f4df2e
	s_mov_b32 s37, 0x3fc7474d
	v_mul_f64 v[16:17], v[8:9], v[10:11]
	v_fma_f64 v[14:15], v[10:11], v[14:15], s[36:37]
	s_mov_b32 s36, 0x16291751
	s_mov_b32 s37, 0x3fcc71c0
	s_delay_alu instid0(VALU_DEP_1) | instid1(SALU_CYCLE_1)
	v_fma_f64 v[14:15], v[10:11], v[14:15], s[36:37]
	s_mov_b32 s36, 0x9b27acf1
	s_mov_b32 s37, 0x3fd24924
	s_delay_alu instid0(VALU_DEP_1) | instid1(SALU_CYCLE_1)
	;; [unrolled: 4-line block ×3, first 2 shown]
	v_fma_f64 v[14:15], v[10:11], v[14:15], s[36:37]
	s_delay_alu instid0(VALU_DEP_1) | instskip(SKIP_4) | instid1(VALU_DEP_3)
	v_fma_f64 v[10:11], v[10:11], v[14:15], s[34:35]
	v_ldexp_f64 v[14:15], v[8:9], 1
	v_add_f64 v[8:9], v[8:9], -v[12:13]
	s_mov_b32 s34, 0xfefa39ef
	s_mov_b32 s35, 0x3fe62e42
	v_mul_f64 v[10:11], v[16:17], v[10:11]
	v_subrev_co_ci_u32_e32 v16, vcc_lo, 0, v18, vcc_lo
	s_delay_alu instid0(VALU_DEP_3) | instskip(SKIP_1) | instid1(VALU_DEP_3)
	v_add_f64 v[6:7], v[6:7], -v[8:9]
	v_cmp_eq_f64_e32 vcc_lo, 0x7ff00000, v[4:5]
	v_cvt_f64_i32_e32 v[16:17], v16
	v_add_f64 v[12:13], v[14:15], v[10:11]
	s_delay_alu instid0(VALU_DEP_4) | instskip(NEXT) | instid1(VALU_DEP_3)
	v_ldexp_f64 v[6:7], v[6:7], 1
	v_mul_f64 v[18:19], v[16:17], s[34:35]
	s_delay_alu instid0(VALU_DEP_3) | instskip(NEXT) | instid1(VALU_DEP_2)
	v_add_f64 v[8:9], v[12:13], -v[14:15]
	v_fma_f64 v[14:15], v[16:17], s[34:35], -v[18:19]
	s_mov_b32 s34, 0x3b39803f
	s_mov_b32 s35, 0x3c7abc9e
	s_delay_alu instid0(VALU_DEP_2) | instskip(NEXT) | instid1(VALU_DEP_2)
	v_add_f64 v[8:9], v[10:11], -v[8:9]
	v_fma_f64 v[10:11], v[16:17], s[34:35], v[14:15]
	s_delay_alu instid0(VALU_DEP_2) | instskip(NEXT) | instid1(VALU_DEP_2)
	v_add_f64 v[6:7], v[6:7], v[8:9]
	v_add_f64 v[8:9], v[18:19], v[10:11]
	s_delay_alu instid0(VALU_DEP_2) | instskip(NEXT) | instid1(VALU_DEP_2)
	v_add_f64 v[14:15], v[12:13], v[6:7]
	v_add_f64 v[18:19], v[8:9], -v[18:19]
	s_delay_alu instid0(VALU_DEP_2) | instskip(SKIP_1) | instid1(VALU_DEP_3)
	v_add_f64 v[16:17], v[8:9], v[14:15]
	v_add_f64 v[12:13], v[14:15], -v[12:13]
	v_add_f64 v[10:11], v[10:11], -v[18:19]
	s_delay_alu instid0(VALU_DEP_3) | instskip(NEXT) | instid1(VALU_DEP_3)
	v_add_f64 v[20:21], v[16:17], -v[8:9]
	v_add_f64 v[6:7], v[6:7], -v[12:13]
	s_delay_alu instid0(VALU_DEP_2) | instskip(SKIP_1) | instid1(VALU_DEP_3)
	v_add_f64 v[22:23], v[16:17], -v[20:21]
	v_add_f64 v[12:13], v[14:15], -v[20:21]
	v_add_f64 v[14:15], v[10:11], v[6:7]
	s_delay_alu instid0(VALU_DEP_3) | instskip(NEXT) | instid1(VALU_DEP_1)
	v_add_f64 v[8:9], v[8:9], -v[22:23]
	v_add_f64 v[8:9], v[12:13], v[8:9]
	s_delay_alu instid0(VALU_DEP_3) | instskip(NEXT) | instid1(VALU_DEP_2)
	v_add_f64 v[12:13], v[14:15], -v[10:11]
	v_add_f64 v[8:9], v[14:15], v[8:9]
	s_delay_alu instid0(VALU_DEP_2) | instskip(SKIP_1) | instid1(VALU_DEP_3)
	v_add_f64 v[14:15], v[14:15], -v[12:13]
	v_add_f64 v[6:7], v[6:7], -v[12:13]
	v_add_f64 v[18:19], v[16:17], v[8:9]
	s_delay_alu instid0(VALU_DEP_3) | instskip(NEXT) | instid1(VALU_DEP_2)
	v_add_f64 v[10:11], v[10:11], -v[14:15]
	v_add_f64 v[12:13], v[18:19], -v[16:17]
	s_delay_alu instid0(VALU_DEP_2) | instskip(SKIP_1) | instid1(VALU_DEP_1)
	v_add_f64 v[6:7], v[6:7], v[10:11]
	v_fmaak_f32 v10, s2, v1, 0x293fd856
	v_fmaak_f32 v11, v1, v10, 0xa51e770f
	s_delay_alu instid0(VALU_DEP_4) | instskip(NEXT) | instid1(VALU_DEP_1)
	v_add_f64 v[8:9], v[8:9], -v[12:13]
	v_add_f64 v[6:7], v[6:7], v[8:9]
	s_delay_alu instid0(VALU_DEP_1) | instskip(NEXT) | instid1(VALU_DEP_4)
	v_add_f64 v[6:7], v[18:19], v[6:7]
	v_add_f32_e32 v11, 0x2d3612e2, v11
	s_delay_alu instid0(VALU_DEP_1) | instskip(NEXT) | instid1(VALU_DEP_1)
	v_fma_f32 v8, v1, v11, -v10
	v_add_f32_e32 v8, 0x3102e09b, v8
	s_delay_alu instid0(VALU_DEP_1) | instskip(NEXT) | instid1(VALU_DEP_1)
	v_fma_f32 v9, v1, v8, -v11
	;; [unrolled: 3-line block ×6, first 2 shown]
	v_add_f32_e32 v9, 0x3eb046c4, v9
	s_delay_alu instid0(VALU_DEP_1) | instskip(SKIP_1) | instid1(VALU_DEP_2)
	v_fma_f32 v1, v1, v9, -v8
	v_cndmask_b32_e32 v9, v7, v5, vcc_lo
	v_add_f32_e32 v1, 0xbf090b37, v1
	s_delay_alu instid0(VALU_DEP_1) | instskip(SKIP_3) | instid1(VALU_DEP_4)
	v_sub_f32_e32 v1, v1, v8
	v_cndmask_b32_e32 v8, v6, v4, vcc_lo
	v_cmp_neq_f64_e32 vcc_lo, 0, v[4:5]
	v_cvt_f64_f32_e32 v[6:7], v3
	v_mul_f32_e32 v1, 0.5, v1
	s_delay_alu instid0(VALU_DEP_1) | instskip(SKIP_2) | instid1(VALU_DEP_1)
	v_cvt_f64_f32_e32 v[4:5], v1
                                        ; implicit-def: $vgpr1
	v_cndmask_b32_e32 v9, 0xfff00000, v9, vcc_lo
	v_cndmask_b32_e32 v8, 0, v8, vcc_lo
	v_fma_f64 v[3:4], -v[8:9], v[6:7], v[4:5]
	s_delay_alu instid0(VALU_DEP_1)
	v_cvt_f32_f64_e32 v3, v[3:4]
.LBB19_182:
	s_and_not1_saveexec_b32 s21, s21
	s_cbranch_execz .LBB19_184
; %bb.183:
	v_div_scale_f32 v3, null, v1, v1, 0x41000000
	v_div_scale_f32 v6, vcc_lo, 0x41000000, v1, 0x41000000
	s_mov_b32 s2, 0x22c38d2e
	s_delay_alu instid0(VALU_DEP_2) | instskip(SKIP_2) | instid1(VALU_DEP_1)
	v_rcp_f32_e32 v4, v3
	s_waitcnt_depctr 0xfff
	v_fma_f32 v5, -v3, v4, 1.0
	v_fmac_f32_e32 v4, v5, v4
	s_delay_alu instid0(VALU_DEP_1) | instskip(NEXT) | instid1(VALU_DEP_1)
	v_mul_f32_e32 v5, v6, v4
	v_fma_f32 v7, -v3, v5, v6
	s_delay_alu instid0(VALU_DEP_1) | instskip(SKIP_1) | instid1(VALU_DEP_2)
	v_fmac_f32_e32 v5, v7, v4
	v_mul_f32_e32 v7, 0xbfb8aa3b, v1
	v_fma_f32 v3, -v3, v5, v6
	v_mul_f32_e32 v6, 0x4f800000, v1
	s_delay_alu instid0(VALU_DEP_3) | instskip(SKIP_1) | instid1(VALU_DEP_4)
	v_rndne_f32_e32 v8, v7
	v_fma_f32 v9, 0xbfb8aa3b, v1, -v7
	v_div_fmas_f32 v3, v3, v4, v5
	v_cmp_gt_f32_e32 vcc_lo, 0xf800000, v1
	s_delay_alu instid0(VALU_DEP_4) | instskip(NEXT) | instid1(VALU_DEP_4)
	v_sub_f32_e32 v7, v7, v8
	v_fmamk_f32 v9, v1, 0xb2a5705f, v9
	v_cvt_i32_f32_e32 v8, v8
	v_div_fixup_f32 v3, v3, v1, 0x41000000
	s_delay_alu instid0(VALU_DEP_3) | instskip(NEXT) | instid1(VALU_DEP_2)
	v_dual_cndmask_b32 v6, v1, v6 :: v_dual_add_f32 v7, v7, v9
	v_add_f32_e32 v3, -2.0, v3
	s_delay_alu instid0(VALU_DEP_2) | instskip(NEXT) | instid1(VALU_DEP_2)
	v_sqrt_f32_e32 v10, v6
	v_exp_f32_e32 v7, v7
	s_delay_alu instid0(VALU_DEP_1) | instskip(NEXT) | instid1(VALU_DEP_1)
	v_fmaak_f32 v4, s2, v3, 0xa397f665
	v_fmaak_f32 v5, v3, v4, 0xa2c38d2e
	s_waitcnt_depctr 0xfff
	v_add_nc_u32_e32 v9, -1, v10
	v_add_nc_u32_e32 v11, 1, v10
	v_add_f32_e32 v5, 0x24704972, v5
	s_delay_alu instid0(VALU_DEP_3) | instskip(NEXT) | instid1(VALU_DEP_3)
	v_fma_f32 v12, -v9, v10, v6
	v_fma_f32 v13, -v11, v10, v6
	s_delay_alu instid0(VALU_DEP_3) | instskip(NEXT) | instid1(VALU_DEP_3)
	v_fma_f32 v4, v3, v5, -v4
	v_cmp_ge_f32_e64 s2, 0, v12
	s_delay_alu instid0(VALU_DEP_2) | instskip(NEXT) | instid1(VALU_DEP_2)
	v_add_f32_e32 v4, 0xa5417ca4, v4
	v_cndmask_b32_e64 v9, v10, v9, s2
	v_cmp_lt_f32_e64 s2, 0, v13
	s_delay_alu instid0(VALU_DEP_3) | instskip(NEXT) | instid1(VALU_DEP_1)
	v_fma_f32 v5, v3, v4, -v5
	v_add_f32_e32 v5, 0x261edfcb, v5
	s_delay_alu instid0(VALU_DEP_1) | instskip(NEXT) | instid1(VALU_DEP_1)
	v_fma_f32 v4, v3, v5, -v4
	v_add_f32_e32 v4, 0xa7053487, v4
	s_delay_alu instid0(VALU_DEP_1) | instskip(NEXT) | instid1(VALU_DEP_1)
	;; [unrolled: 3-line block ×19, first 2 shown]
	v_fma_f32 v4, v3, v5, -v4
	v_add_f32_e32 v4, 0xbd00cfb9, v4
	s_delay_alu instid0(VALU_DEP_1) | instskip(SKIP_3) | instid1(VALU_DEP_4)
	v_fma_f32 v3, v3, v4, -v5
	v_ldexp_f32 v4, v7, v8
	v_cndmask_b32_e64 v7, v9, v11, s2
	v_cmp_nlt_f32_e64 s2, 0x42ce8ed0, v1
	v_add_f32_e32 v3, 0x401c2ded, v3
	s_delay_alu instid0(VALU_DEP_3) | instskip(NEXT) | instid1(VALU_DEP_3)
	v_mul_f32_e32 v8, 0x37800000, v7
	v_cndmask_b32_e64 v4, 0, v4, s2
	v_cmp_ngt_f32_e64 s2, 0xc2b17218, v1
	s_delay_alu instid0(VALU_DEP_4) | instskip(NEXT) | instid1(VALU_DEP_2)
	v_sub_f32_e32 v3, v3, v5
	v_cndmask_b32_e64 v1, 0x7f800000, v4, s2
	s_delay_alu instid0(VALU_DEP_2) | instskip(SKIP_1) | instid1(VALU_DEP_2)
	v_dual_cndmask_b32 v4, v7, v8 :: v_dual_mul_f32 v3, 0.5, v3
	v_cmp_class_f32_e64 vcc_lo, v6, 0x260
	v_dual_mul_f32 v1, v1, v3 :: v_dual_cndmask_b32 v4, v4, v6
	s_delay_alu instid0(VALU_DEP_1) | instskip(NEXT) | instid1(VALU_DEP_1)
	v_div_scale_f32 v3, null, v4, v4, v1
	v_rcp_f32_e32 v5, v3
	s_waitcnt_depctr 0xfff
	v_fma_f32 v6, -v3, v5, 1.0
	s_delay_alu instid0(VALU_DEP_1) | instskip(SKIP_1) | instid1(VALU_DEP_1)
	v_fmac_f32_e32 v5, v6, v5
	v_div_scale_f32 v6, vcc_lo, v1, v4, v1
	v_mul_f32_e32 v7, v6, v5
	s_delay_alu instid0(VALU_DEP_1) | instskip(NEXT) | instid1(VALU_DEP_1)
	v_fma_f32 v8, -v3, v7, v6
	v_fmac_f32_e32 v7, v8, v5
	s_delay_alu instid0(VALU_DEP_1) | instskip(NEXT) | instid1(VALU_DEP_1)
	v_fma_f32 v3, -v3, v7, v6
	v_div_fmas_f32 v3, v3, v5, v7
	s_delay_alu instid0(VALU_DEP_1)
	v_div_fixup_f32 v3, v3, v4, v1
.LBB19_184:
	s_or_b32 exec_lo, exec_lo, s21
.LBB19_185:
	s_delay_alu instid0(SALU_CYCLE_1)
	s_or_b32 exec_lo, exec_lo, s20
.LBB19_186:
	s_delay_alu instid0(SALU_CYCLE_1) | instskip(SKIP_3) | instid1(SALU_CYCLE_1)
	s_or_b32 exec_lo, exec_lo, s3
	v_add_nc_u32_e32 v2, 0x80, v2
	global_store_b32 v0, v3, s[4:5]
	s_or_b32 exec_lo, exec_lo, s30
	s_mov_b32 s20, exec_lo
	v_cmpx_gt_i32_e64 s27, v2
	s_cbranch_execz .LBB19_165
.LBB19_187:
	s_and_not1_b32 vcc_lo, exec_lo, s24
	s_cbranch_vccnz .LBB19_192
; %bb.188:
	v_dual_mov_b32 v0, 0 :: v_dual_mov_b32 v1, 0
	s_and_not1_b32 vcc_lo, exec_lo, s29
	s_mov_b32 s21, 0
	s_cbranch_vccnz .LBB19_197
; %bb.189:
	v_mov_b32_e32 v0, 0
	s_add_i32 s28, s28, 1
	s_cmp_eq_u32 s23, 2
	s_mov_b32 s27, 0
	s_cbranch_scc1 .LBB19_193
; %bb.190:
	v_dual_mov_b32 v1, 0 :: v_dual_mov_b32 v0, 0
	v_mov_b32_e32 v3, v2
	s_and_b32 s27, s28, 28
	s_mov_b32 s29, 0
	s_mov_b64 s[2:3], s[0:1]
.LBB19_191:                             ; =>This Inner Loop Header: Depth=1
	s_clause 0x1
	s_load_b256 s[36:43], s[2:3], 0x4
	s_load_b128 s[52:55], s[2:3], 0x24
	s_load_b256 s[44:51], s[18:19], 0x0
	s_add_u32 s2, s2, 48
	s_addc_u32 s3, s3, 0
	s_add_i32 s29, s29, 4
	s_add_u32 s18, s18, 32
	s_addc_u32 s19, s19, 0
	s_cmp_eq_u32 s27, s29
	s_waitcnt lgkmcnt(0)
	v_mul_hi_u32 v4, s37, v3
	s_delay_alu instid0(VALU_DEP_1) | instskip(NEXT) | instid1(VALU_DEP_1)
	v_add_nc_u32_e32 v4, v3, v4
	v_lshrrev_b32_e32 v4, s38, v4
	s_delay_alu instid0(VALU_DEP_1) | instskip(SKIP_1) | instid1(VALU_DEP_2)
	v_mul_hi_u32 v5, s40, v4
	v_mul_lo_u32 v7, v4, s36
	v_add_nc_u32_e32 v5, v4, v5
	s_delay_alu instid0(VALU_DEP_2) | instskip(NEXT) | instid1(VALU_DEP_2)
	v_sub_nc_u32_e32 v3, v3, v7
	v_lshrrev_b32_e32 v5, s41, v5
	s_delay_alu instid0(VALU_DEP_2) | instskip(SKIP_1) | instid1(VALU_DEP_3)
	v_mul_lo_u32 v7, v3, s44
	v_mul_lo_u32 v9, v3, s45
	v_mul_hi_u32 v6, s43, v5
	s_delay_alu instid0(VALU_DEP_1) | instskip(NEXT) | instid1(VALU_DEP_1)
	v_add_nc_u32_e32 v6, v5, v6
	v_lshrrev_b32_e32 v6, s52, v6
	s_delay_alu instid0(VALU_DEP_1) | instskip(SKIP_1) | instid1(VALU_DEP_2)
	v_mul_hi_u32 v8, s54, v6
	v_mul_lo_u32 v10, v6, s42
	v_add_nc_u32_e32 v3, v6, v8
	v_mul_lo_u32 v8, v5, s39
	s_delay_alu instid0(VALU_DEP_3) | instskip(NEXT) | instid1(VALU_DEP_3)
	v_sub_nc_u32_e32 v5, v5, v10
	v_lshrrev_b32_e32 v3, s55, v3
	s_delay_alu instid0(VALU_DEP_2) | instskip(SKIP_2) | instid1(VALU_DEP_4)
	v_mul_lo_u32 v10, v5, s48
	v_mul_lo_u32 v5, v5, s49
	v_sub_nc_u32_e32 v4, v4, v8
	v_mul_lo_u32 v11, v3, s53
	s_delay_alu instid0(VALU_DEP_2) | instskip(SKIP_1) | instid1(VALU_DEP_3)
	v_mul_lo_u32 v8, v4, s46
	v_mul_lo_u32 v4, v4, s47
	v_sub_nc_u32_e32 v6, v6, v11
	s_delay_alu instid0(VALU_DEP_3) | instskip(NEXT) | instid1(VALU_DEP_2)
	v_add3_u32 v0, v7, v0, v8
	v_mul_lo_u32 v11, v6, s50
	v_mul_lo_u32 v6, v6, s51
	v_add3_u32 v1, v9, v1, v4
	s_delay_alu instid0(VALU_DEP_3) | instskip(NEXT) | instid1(VALU_DEP_2)
	v_add3_u32 v0, v10, v0, v11
	v_add3_u32 v1, v5, v1, v6
	s_cbranch_scc0 .LBB19_191
	s_branch .LBB19_194
.LBB19_192:
	s_mov_b32 s21, -1
                                        ; implicit-def: $vgpr0
                                        ; implicit-def: $vgpr1
	s_branch .LBB19_197
.LBB19_193:
	v_mov_b32_e32 v3, v2
	v_mov_b32_e32 v1, 0
.LBB19_194:
	s_and_b32 s28, s28, 3
	s_delay_alu instid0(SALU_CYCLE_1)
	s_cmp_eq_u32 s28, 0
	s_cbranch_scc1 .LBB19_197
; %bb.195:
	s_lshl_b32 s2, s27, 3
	s_mul_i32 s18, s27, 12
	s_add_u32 s2, s2, s0
	s_addc_u32 s3, s1, 0
	s_add_u32 s2, s2, 0xc4
	s_addc_u32 s3, s3, 0
	;; [unrolled: 2-line block ×3, first 2 shown]
	.p2align	6
.LBB19_196:                             ; =>This Inner Loop Header: Depth=1
	s_clause 0x1
	s_load_b64 s[30:31], s[18:19], 0x4
	s_load_b32 s27, s[18:19], 0xc
	s_load_b64 s[34:35], s[2:3], 0x0
	s_add_u32 s18, s18, 12
	s_addc_u32 s19, s19, 0
	s_add_u32 s2, s2, 8
	s_addc_u32 s3, s3, 0
	s_add_i32 s28, s28, -1
	s_delay_alu instid0(SALU_CYCLE_1) | instskip(SKIP_2) | instid1(VALU_DEP_1)
	s_cmp_lg_u32 s28, 0
	s_waitcnt lgkmcnt(0)
	v_mul_hi_u32 v4, s31, v3
	v_add_nc_u32_e32 v4, v3, v4
	s_delay_alu instid0(VALU_DEP_1) | instskip(NEXT) | instid1(VALU_DEP_1)
	v_lshrrev_b32_e32 v7, s27, v4
	v_mul_lo_u32 v4, v7, s30
	s_delay_alu instid0(VALU_DEP_1) | instskip(NEXT) | instid1(VALU_DEP_1)
	v_sub_nc_u32_e32 v3, v3, v4
	v_mad_u64_u32 v[4:5], null, v3, s34, v[0:1]
	v_mad_u64_u32 v[5:6], null, v3, s35, v[1:2]
	s_delay_alu instid0(VALU_DEP_2) | instskip(NEXT) | instid1(VALU_DEP_2)
	v_dual_mov_b32 v3, v7 :: v_dual_mov_b32 v0, v4
	v_mov_b32_e32 v1, v5
	s_cbranch_scc1 .LBB19_196
.LBB19_197:
	s_and_not1_b32 vcc_lo, exec_lo, s21
	s_cbranch_vccnz .LBB19_200
; %bb.198:
	s_waitcnt lgkmcnt(0)
	v_mul_hi_u32 v0, s13, v2
	s_and_not1_b32 vcc_lo, exec_lo, s26
	s_delay_alu instid0(VALU_DEP_1) | instskip(NEXT) | instid1(VALU_DEP_1)
	v_add_nc_u32_e32 v0, v2, v0
	v_lshrrev_b32_e32 v3, s14, v0
	s_delay_alu instid0(VALU_DEP_1) | instskip(NEXT) | instid1(VALU_DEP_1)
	v_mul_lo_u32 v0, v3, s12
	v_sub_nc_u32_e32 v1, v2, v0
	s_delay_alu instid0(VALU_DEP_1)
	v_mul_lo_u32 v0, v1, s8
	v_mul_lo_u32 v1, v1, s9
	s_cbranch_vccnz .LBB19_200
; %bb.199:
	v_mul_hi_u32 v2, s16, v3
	s_delay_alu instid0(VALU_DEP_1) | instskip(NEXT) | instid1(VALU_DEP_1)
	v_add_nc_u32_e32 v2, v3, v2
	v_lshrrev_b32_e32 v2, s17, v2
	s_delay_alu instid0(VALU_DEP_1) | instskip(NEXT) | instid1(VALU_DEP_1)
	v_mul_lo_u32 v2, v2, s15
	v_sub_nc_u32_e32 v5, v3, v2
	s_delay_alu instid0(VALU_DEP_1) | instskip(NEXT) | instid1(VALU_DEP_1)
	v_mad_u64_u32 v[2:3], null, v5, s10, v[0:1]
	v_mad_u64_u32 v[3:4], null, v5, s11, v[1:2]
	s_delay_alu instid0(VALU_DEP_1)
	v_dual_mov_b32 v0, v2 :: v_dual_mov_b32 v1, v3
.LBB19_200:
	s_waitcnt lgkmcnt(0)
	global_load_b32 v1, v1, s[6:7]
	v_mov_b32_e32 v2, 0x7f800000
	s_mov_b32 s3, exec_lo
	s_waitcnt vmcnt(0)
	v_cmpx_neq_f32_e32 0, v1
	s_cbranch_execz .LBB19_212
; %bb.201:
	v_mov_b32_e32 v2, 0x7fc00000
	s_mov_b32 s6, exec_lo
	v_cmpx_ngt_f32_e32 0, v1
	s_cbranch_execz .LBB19_211
; %bb.202:
                                        ; implicit-def: $vgpr2
	s_mov_b32 s2, exec_lo
	v_cmpx_ge_f32_e32 2.0, v1
	s_xor_b32 s7, exec_lo, s2
	s_cbranch_execz .LBB19_208
; %bb.203:
	s_mov_b32 s2, exec_lo
                                        ; implicit-def: $vgpr2
	v_cmpx_ge_f32_e32 0x41000000, v1
	s_xor_b32 s2, exec_lo, s2
	s_cbranch_execz .LBB19_205
; %bb.204:
	v_fma_f32 v2, v1, 0.5, -2.0
	s_mov_b32 s8, 0xa2a2e5b9
	v_mul_f32_e32 v5, 0x3fb8aa3b, v1
	v_cmp_ngt_f32_e32 vcc_lo, 0xc2ce8ed0, v1
	s_delay_alu instid0(VALU_DEP_3) | instskip(NEXT) | instid1(VALU_DEP_3)
	v_fmaak_f32 v3, s8, v2, 0x24199b15
	v_rndne_f32_e32 v6, v5
	v_fma_f32 v7, 0x3fb8aa3b, v1, -v5
	s_delay_alu instid0(VALU_DEP_2) | instskip(NEXT) | instid1(VALU_DEP_2)
	v_dual_fmaak_f32 v4, v2, v3, 0x22a2e5b9 :: v_dual_sub_f32 v5, v5, v6
	v_fmamk_f32 v7, v1, 0x32a5705f, v7
	v_cvt_i32_f32_e32 v6, v6
	s_delay_alu instid0(VALU_DEP_2) | instskip(NEXT) | instid1(VALU_DEP_1)
	v_dual_add_f32 v4, 0xa58c275c, v4 :: v_dual_add_f32 v5, v5, v7
	v_fma_f32 v3, v2, v4, -v3
	s_delay_alu instid0(VALU_DEP_2) | instskip(NEXT) | instid1(VALU_DEP_1)
	v_exp_f32_e32 v5, v5
	v_add_f32_e32 v3, 0x26f736c5, v3
	s_delay_alu instid0(VALU_DEP_1) | instskip(NEXT) | instid1(VALU_DEP_1)
	v_fma_f32 v4, v2, v3, -v4
	v_add_f32_e32 v4, 0xa8528116, v4
	s_delay_alu instid0(VALU_DEP_1) | instskip(NEXT) | instid1(VALU_DEP_1)
	v_fma_f32 v3, v2, v4, -v3
	;; [unrolled: 3-line block ×25, first 2 shown]
	v_add_f32_e32 v4, 0xbe9bff5e, v4
	s_delay_alu instid0(VALU_DEP_1) | instskip(SKIP_1) | instid1(VALU_DEP_2)
	v_fma_f32 v2, v2, v4, -v3
	v_ldexp_f32 v4, v5, v6
	v_add_f32_e32 v2, 0x3f2d4275, v2
	s_delay_alu instid0(VALU_DEP_2) | instskip(SKIP_1) | instid1(VALU_DEP_2)
	v_cndmask_b32_e32 v4, 0, v4, vcc_lo
	v_cmp_nlt_f32_e32 vcc_lo, 0x42b17218, v1
	v_dual_sub_f32 v2, v2, v3 :: v_dual_cndmask_b32 v3, 0x7f800000, v4
	s_delay_alu instid0(VALU_DEP_1) | instskip(NEXT) | instid1(VALU_DEP_1)
	v_mul_f32_e32 v2, 0.5, v2
	v_mul_f32_e32 v2, v3, v2
.LBB19_205:
	s_and_not1_saveexec_b32 s8, s2
	s_cbranch_execz .LBB19_207
; %bb.206:
	v_div_scale_f32 v2, null, v1, v1, 0x42000000
	v_div_scale_f32 v5, vcc_lo, 0x42000000, v1, 0x42000000
	s_mov_b32 s2, 0xa3056dbb
	s_delay_alu instid0(VALU_DEP_2) | instskip(SKIP_2) | instid1(VALU_DEP_1)
	v_rcp_f32_e32 v3, v2
	s_waitcnt_depctr 0xfff
	v_fma_f32 v4, -v2, v3, 1.0
	v_fmac_f32_e32 v3, v4, v3
	s_delay_alu instid0(VALU_DEP_1) | instskip(NEXT) | instid1(VALU_DEP_1)
	v_mul_f32_e32 v4, v5, v3
	v_fma_f32 v6, -v2, v4, v5
	s_delay_alu instid0(VALU_DEP_1) | instskip(SKIP_1) | instid1(VALU_DEP_2)
	v_fmac_f32_e32 v4, v6, v3
	v_mul_f32_e32 v6, 0x3fb8aa3b, v1
	v_fma_f32 v2, -v2, v4, v5
	v_mul_f32_e32 v5, 0x4f800000, v1
	s_delay_alu instid0(VALU_DEP_3) | instskip(SKIP_1) | instid1(VALU_DEP_4)
	v_rndne_f32_e32 v7, v6
	v_fma_f32 v8, 0x3fb8aa3b, v1, -v6
	v_div_fmas_f32 v2, v2, v3, v4
	v_cmp_gt_f32_e32 vcc_lo, 0xf800000, v1
	s_delay_alu instid0(VALU_DEP_4) | instskip(NEXT) | instid1(VALU_DEP_4)
	v_sub_f32_e32 v6, v6, v7
	v_fmamk_f32 v8, v1, 0x32a5705f, v8
	v_cvt_i32_f32_e32 v7, v7
	v_div_fixup_f32 v2, v2, v1, 0x42000000
	s_delay_alu instid0(VALU_DEP_3) | instskip(NEXT) | instid1(VALU_DEP_2)
	v_dual_cndmask_b32 v5, v1, v5 :: v_dual_add_f32 v6, v6, v8
	v_add_f32_e32 v2, -2.0, v2
	s_delay_alu instid0(VALU_DEP_2) | instskip(NEXT) | instid1(VALU_DEP_2)
	v_sqrt_f32_e32 v9, v5
	v_exp_f32_e32 v6, v6
	s_delay_alu instid0(VALU_DEP_1) | instskip(NEXT) | instid1(VALU_DEP_1)
	v_fmaak_f32 v3, s2, v2, 0xa2b236d3
	v_fmaak_f32 v4, v2, v3, 0x23056dbb
	s_waitcnt_depctr 0xfff
	v_add_nc_u32_e32 v8, -1, v9
	v_add_nc_u32_e32 v10, 1, v9
	v_add_f32_e32 v4, 0x244df0c1, v4
	s_delay_alu instid0(VALU_DEP_3) | instskip(NEXT) | instid1(VALU_DEP_3)
	v_fma_f32 v11, -v8, v9, v5
	v_fma_f32 v12, -v10, v9, v5
	s_delay_alu instid0(VALU_DEP_3) | instskip(NEXT) | instid1(VALU_DEP_3)
	v_fma_f32 v3, v2, v4, -v3
	v_cmp_ge_f32_e64 s2, 0, v11
	s_delay_alu instid0(VALU_DEP_2) | instskip(NEXT) | instid1(VALU_DEP_2)
	v_add_f32_e32 v3, 0x241f9ee8, v3
	v_cndmask_b32_e64 v8, v9, v8, s2
	v_cmp_lt_f32_e64 s2, 0, v12
	s_delay_alu instid0(VALU_DEP_3) | instskip(NEXT) | instid1(VALU_DEP_1)
	v_fma_f32 v4, v2, v3, -v4
	v_add_f32_e32 v4, 0xa5a3005d, v4
	s_delay_alu instid0(VALU_DEP_1) | instskip(NEXT) | instid1(VALU_DEP_1)
	v_fma_f32 v3, v2, v4, -v3
	v_add_f32_e32 v3, 0xa5c5773f, v3
	s_delay_alu instid0(VALU_DEP_1) | instskip(NEXT) | instid1(VALU_DEP_1)
	;; [unrolled: 3-line block ×19, first 2 shown]
	v_fma_f32 v3, v2, v4, -v3
	v_add_f32_e32 v3, 0x3b5ccc65, v3
	s_delay_alu instid0(VALU_DEP_1) | instskip(SKIP_3) | instid1(VALU_DEP_4)
	v_fma_f32 v2, v2, v3, -v4
	v_ldexp_f32 v3, v6, v7
	v_cndmask_b32_e64 v6, v8, v10, s2
	v_cmp_ngt_f32_e64 s2, 0xc2ce8ed0, v1
	v_add_f32_e32 v2, 0x3f4df315, v2
	s_delay_alu instid0(VALU_DEP_3) | instskip(NEXT) | instid1(VALU_DEP_3)
	v_mul_f32_e32 v7, 0x37800000, v6
	v_cndmask_b32_e64 v3, 0, v3, s2
	v_cmp_nlt_f32_e64 s2, 0x42b17218, v1
	s_delay_alu instid0(VALU_DEP_4) | instskip(NEXT) | instid1(VALU_DEP_4)
	v_sub_f32_e32 v2, v2, v4
	v_cndmask_b32_e32 v4, v6, v7, vcc_lo
	v_cmp_class_f32_e64 vcc_lo, v5, 0x260
	s_delay_alu instid0(VALU_DEP_4) | instskip(NEXT) | instid1(VALU_DEP_4)
	v_cndmask_b32_e64 v3, 0x7f800000, v3, s2
	v_mul_f32_e32 v2, 0.5, v2
	s_delay_alu instid0(VALU_DEP_4) | instskip(NEXT) | instid1(VALU_DEP_2)
	v_cndmask_b32_e32 v4, v4, v5, vcc_lo
	v_mul_f32_e32 v2, v3, v2
	s_delay_alu instid0(VALU_DEP_1) | instskip(NEXT) | instid1(VALU_DEP_1)
	v_div_scale_f32 v3, null, v4, v4, v2
	v_rcp_f32_e32 v5, v3
	s_waitcnt_depctr 0xfff
	v_fma_f32 v6, -v3, v5, 1.0
	s_delay_alu instid0(VALU_DEP_1) | instskip(SKIP_1) | instid1(VALU_DEP_1)
	v_fmac_f32_e32 v5, v6, v5
	v_div_scale_f32 v6, vcc_lo, v2, v4, v2
	v_mul_f32_e32 v7, v6, v5
	s_delay_alu instid0(VALU_DEP_1) | instskip(NEXT) | instid1(VALU_DEP_1)
	v_fma_f32 v8, -v3, v7, v6
	v_fmac_f32_e32 v7, v8, v5
	s_delay_alu instid0(VALU_DEP_1) | instskip(NEXT) | instid1(VALU_DEP_1)
	v_fma_f32 v3, -v3, v7, v6
	v_div_fmas_f32 v3, v3, v5, v7
	s_delay_alu instid0(VALU_DEP_1)
	v_div_fixup_f32 v2, v3, v4, v2
.LBB19_207:
	s_or_b32 exec_lo, exec_lo, s8
	v_cvt_f64_f32_e32 v[3:4], v1
	s_mov_b32 s9, 0x3fe55555
	s_mov_b32 s8, 0x55555555
	v_fma_f32 v1, v1, v1, -2.0
	v_mov_b32_e32 v7, 0
	s_mov_b32 s10, 0x6b47b09a
	s_mov_b32 s12, 0xbf559e2b
	;; [unrolled: 1-line block ×5, first 2 shown]
	s_delay_alu instid0(VALU_DEP_3) | instskip(NEXT) | instid1(VALU_DEP_1)
	v_mul_f64 v[3:4], v[3:4], 0.5
	v_frexp_mant_f64_e32 v[5:6], v[3:4]
	s_delay_alu instid0(VALU_DEP_1) | instskip(SKIP_2) | instid1(VALU_DEP_1)
	v_cmp_gt_f64_e32 vcc_lo, s[8:9], v[5:6]
	s_mov_b32 s8, 0x55555780
	v_cndmask_b32_e64 v8, 0x3ff00000, 2.0, vcc_lo
	v_mul_f64 v[5:6], v[5:6], v[7:8]
	s_delay_alu instid0(VALU_DEP_1) | instskip(SKIP_1) | instid1(VALU_DEP_2)
	v_add_f64 v[7:8], v[5:6], 1.0
	v_add_f64 v[13:14], v[5:6], -1.0
	v_rcp_f64_e32 v[9:10], v[7:8]
	v_add_f64 v[15:16], v[7:8], -1.0
	s_delay_alu instid0(VALU_DEP_1) | instskip(SKIP_2) | instid1(VALU_DEP_1)
	v_add_f64 v[5:6], v[5:6], -v[15:16]
	s_waitcnt_depctr 0xfff
	v_fma_f64 v[11:12], -v[7:8], v[9:10], 1.0
	v_fma_f64 v[9:10], v[11:12], v[9:10], v[9:10]
	s_delay_alu instid0(VALU_DEP_1) | instskip(NEXT) | instid1(VALU_DEP_1)
	v_fma_f64 v[11:12], -v[7:8], v[9:10], 1.0
	v_fma_f64 v[9:10], v[11:12], v[9:10], v[9:10]
	s_delay_alu instid0(VALU_DEP_1) | instskip(NEXT) | instid1(VALU_DEP_1)
	v_mul_f64 v[11:12], v[13:14], v[9:10]
	v_mul_f64 v[17:18], v[7:8], v[11:12]
	s_delay_alu instid0(VALU_DEP_1) | instskip(NEXT) | instid1(VALU_DEP_1)
	v_fma_f64 v[7:8], v[11:12], v[7:8], -v[17:18]
	v_fma_f64 v[5:6], v[11:12], v[5:6], v[7:8]
	s_delay_alu instid0(VALU_DEP_1) | instskip(NEXT) | instid1(VALU_DEP_1)
	v_add_f64 v[7:8], v[17:18], v[5:6]
	v_add_f64 v[15:16], v[13:14], -v[7:8]
	v_add_f64 v[17:18], v[7:8], -v[17:18]
	s_delay_alu instid0(VALU_DEP_2) | instskip(NEXT) | instid1(VALU_DEP_2)
	v_add_f64 v[13:14], v[13:14], -v[15:16]
	v_add_f64 v[5:6], v[17:18], -v[5:6]
	v_frexp_exp_i32_f64_e32 v17, v[3:4]
	s_delay_alu instid0(VALU_DEP_3) | instskip(NEXT) | instid1(VALU_DEP_1)
	v_add_f64 v[7:8], v[13:14], -v[7:8]
	v_add_f64 v[5:6], v[5:6], v[7:8]
	s_delay_alu instid0(VALU_DEP_1) | instskip(NEXT) | instid1(VALU_DEP_1)
	v_add_f64 v[5:6], v[15:16], v[5:6]
	v_mul_f64 v[5:6], v[9:10], v[5:6]
	s_delay_alu instid0(VALU_DEP_1) | instskip(NEXT) | instid1(VALU_DEP_1)
	v_add_f64 v[7:8], v[11:12], v[5:6]
	v_mul_f64 v[9:10], v[7:8], v[7:8]
	s_delay_alu instid0(VALU_DEP_1) | instskip(SKIP_3) | instid1(VALU_DEP_2)
	v_fma_f64 v[13:14], v[9:10], s[12:13], s[10:11]
	s_mov_b32 s10, 0xd7f4df2e
	s_mov_b32 s11, 0x3fc7474d
	v_mul_f64 v[15:16], v[7:8], v[9:10]
	v_fma_f64 v[13:14], v[9:10], v[13:14], s[10:11]
	s_mov_b32 s10, 0x16291751
	s_mov_b32 s11, 0x3fcc71c0
	s_delay_alu instid0(VALU_DEP_1) | instid1(SALU_CYCLE_1)
	v_fma_f64 v[13:14], v[9:10], v[13:14], s[10:11]
	s_mov_b32 s10, 0x9b27acf1
	s_mov_b32 s11, 0x3fd24924
	s_delay_alu instid0(VALU_DEP_1) | instid1(SALU_CYCLE_1)
	;; [unrolled: 4-line block ×3, first 2 shown]
	v_fma_f64 v[13:14], v[9:10], v[13:14], s[10:11]
	s_delay_alu instid0(VALU_DEP_1) | instskip(SKIP_4) | instid1(VALU_DEP_3)
	v_fma_f64 v[9:10], v[9:10], v[13:14], s[8:9]
	v_ldexp_f64 v[13:14], v[7:8], 1
	v_add_f64 v[7:8], v[7:8], -v[11:12]
	s_mov_b32 s8, 0xfefa39ef
	s_mov_b32 s9, 0x3fe62e42
	v_mul_f64 v[9:10], v[15:16], v[9:10]
	v_subrev_co_ci_u32_e32 v15, vcc_lo, 0, v17, vcc_lo
	s_delay_alu instid0(VALU_DEP_3) | instskip(SKIP_1) | instid1(VALU_DEP_3)
	v_add_f64 v[5:6], v[5:6], -v[7:8]
	v_cmp_eq_f64_e32 vcc_lo, 0x7ff00000, v[3:4]
	v_cvt_f64_i32_e32 v[15:16], v15
	v_add_f64 v[11:12], v[13:14], v[9:10]
	s_delay_alu instid0(VALU_DEP_4) | instskip(NEXT) | instid1(VALU_DEP_3)
	v_ldexp_f64 v[5:6], v[5:6], 1
	v_mul_f64 v[17:18], v[15:16], s[8:9]
	s_delay_alu instid0(VALU_DEP_3) | instskip(NEXT) | instid1(VALU_DEP_2)
	v_add_f64 v[7:8], v[11:12], -v[13:14]
	v_fma_f64 v[13:14], v[15:16], s[8:9], -v[17:18]
	s_mov_b32 s8, 0x3b39803f
	s_mov_b32 s9, 0x3c7abc9e
	s_delay_alu instid0(VALU_DEP_2) | instskip(NEXT) | instid1(VALU_DEP_2)
	v_add_f64 v[7:8], v[9:10], -v[7:8]
	v_fma_f64 v[9:10], v[15:16], s[8:9], v[13:14]
	s_delay_alu instid0(VALU_DEP_2) | instskip(NEXT) | instid1(VALU_DEP_2)
	v_add_f64 v[5:6], v[5:6], v[7:8]
	v_add_f64 v[7:8], v[17:18], v[9:10]
	s_delay_alu instid0(VALU_DEP_2) | instskip(NEXT) | instid1(VALU_DEP_2)
	v_add_f64 v[13:14], v[11:12], v[5:6]
	v_add_f64 v[17:18], v[7:8], -v[17:18]
	s_delay_alu instid0(VALU_DEP_2) | instskip(SKIP_1) | instid1(VALU_DEP_3)
	v_add_f64 v[15:16], v[7:8], v[13:14]
	v_add_f64 v[11:12], v[13:14], -v[11:12]
	v_add_f64 v[9:10], v[9:10], -v[17:18]
	s_delay_alu instid0(VALU_DEP_3) | instskip(NEXT) | instid1(VALU_DEP_3)
	v_add_f64 v[19:20], v[15:16], -v[7:8]
	v_add_f64 v[5:6], v[5:6], -v[11:12]
	s_delay_alu instid0(VALU_DEP_2) | instskip(SKIP_1) | instid1(VALU_DEP_3)
	v_add_f64 v[21:22], v[15:16], -v[19:20]
	v_add_f64 v[11:12], v[13:14], -v[19:20]
	v_add_f64 v[13:14], v[9:10], v[5:6]
	s_delay_alu instid0(VALU_DEP_3) | instskip(NEXT) | instid1(VALU_DEP_1)
	v_add_f64 v[7:8], v[7:8], -v[21:22]
	v_add_f64 v[7:8], v[11:12], v[7:8]
	s_delay_alu instid0(VALU_DEP_3) | instskip(NEXT) | instid1(VALU_DEP_2)
	v_add_f64 v[11:12], v[13:14], -v[9:10]
	v_add_f64 v[7:8], v[13:14], v[7:8]
	s_delay_alu instid0(VALU_DEP_2) | instskip(SKIP_1) | instid1(VALU_DEP_3)
	v_add_f64 v[13:14], v[13:14], -v[11:12]
	v_add_f64 v[5:6], v[5:6], -v[11:12]
	v_add_f64 v[17:18], v[15:16], v[7:8]
	s_delay_alu instid0(VALU_DEP_3) | instskip(NEXT) | instid1(VALU_DEP_2)
	v_add_f64 v[9:10], v[9:10], -v[13:14]
	v_add_f64 v[11:12], v[17:18], -v[15:16]
	s_delay_alu instid0(VALU_DEP_2) | instskip(SKIP_1) | instid1(VALU_DEP_1)
	v_add_f64 v[5:6], v[5:6], v[9:10]
	v_fmaak_f32 v9, s2, v1, 0x293fd856
	v_fmaak_f32 v10, v1, v9, 0xa51e770f
	s_delay_alu instid0(VALU_DEP_1) | instskip(SKIP_1) | instid1(VALU_DEP_1)
	v_add_f32_e32 v10, 0x2d3612e2, v10
	v_add_f64 v[7:8], v[7:8], -v[11:12]
	v_add_f64 v[5:6], v[5:6], v[7:8]
	s_delay_alu instid0(VALU_DEP_3) | instskip(NEXT) | instid1(VALU_DEP_2)
	v_fma_f32 v7, v1, v10, -v9
	v_add_f64 v[5:6], v[17:18], v[5:6]
	s_delay_alu instid0(VALU_DEP_1) | instskip(NEXT) | instid1(VALU_DEP_1)
	v_dual_add_f32 v7, 0x3102e09b, v7 :: v_dual_cndmask_b32 v6, v6, v4
	v_fma_f32 v8, v1, v7, -v10
	s_delay_alu instid0(VALU_DEP_3) | instskip(SKIP_1) | instid1(VALU_DEP_3)
	v_cndmask_b32_e32 v5, v5, v3, vcc_lo
	v_cmp_neq_f64_e32 vcc_lo, 0, v[3:4]
	v_add_f32_e32 v8, 0x348815e7, v8
	s_delay_alu instid0(VALU_DEP_1) | instskip(NEXT) | instid1(VALU_DEP_1)
	v_fma_f32 v7, v1, v8, -v7
	v_add_f32_e32 v7, 0x37bfc808, v7
	s_delay_alu instid0(VALU_DEP_1) | instskip(NEXT) | instid1(VALU_DEP_1)
	v_fma_f32 v8, v1, v7, -v8
	;; [unrolled: 3-line block ×3, first 2 shown]
	v_add_f32_e32 v7, 0x3d135fb3, v7
	s_delay_alu instid0(VALU_DEP_1) | instskip(SKIP_2) | instid1(VALU_DEP_3)
	v_fma_f32 v8, v1, v7, -v8
	v_cndmask_b32_e32 v5, 0, v5, vcc_lo
	v_cndmask_b32_e32 v6, 0xfff00000, v6, vcc_lo
	v_add_f32_e32 v8, 0x3eb046c4, v8
	s_delay_alu instid0(VALU_DEP_1) | instskip(NEXT) | instid1(VALU_DEP_1)
	v_fma_f32 v1, v1, v8, -v7
	v_add_f32_e32 v1, 0xbf090b37, v1
	s_delay_alu instid0(VALU_DEP_1) | instskip(NEXT) | instid1(VALU_DEP_1)
	v_sub_f32_e32 v1, v1, v7
	v_mul_f32_e32 v1, 0.5, v1
	s_delay_alu instid0(VALU_DEP_1) | instskip(SKIP_1) | instid1(VALU_DEP_1)
	v_cvt_f64_f32_e32 v[3:4], v1
	v_cvt_f64_f32_e32 v[1:2], v2
	v_fma_f64 v[1:2], -v[5:6], v[1:2], v[3:4]
	s_delay_alu instid0(VALU_DEP_1)
	v_cvt_f32_f64_e32 v2, v[1:2]
                                        ; implicit-def: $vgpr1
.LBB19_208:
	s_and_not1_saveexec_b32 s7, s7
	s_cbranch_execz .LBB19_210
; %bb.209:
	v_div_scale_f32 v2, null, v1, v1, 0x41000000
	v_div_scale_f32 v5, vcc_lo, 0x41000000, v1, 0x41000000
	s_mov_b32 s2, 0x22c38d2e
	s_delay_alu instid0(VALU_DEP_2) | instskip(SKIP_2) | instid1(VALU_DEP_1)
	v_rcp_f32_e32 v3, v2
	s_waitcnt_depctr 0xfff
	v_fma_f32 v4, -v2, v3, 1.0
	v_fmac_f32_e32 v3, v4, v3
	s_delay_alu instid0(VALU_DEP_1) | instskip(NEXT) | instid1(VALU_DEP_1)
	v_mul_f32_e32 v4, v5, v3
	v_fma_f32 v6, -v2, v4, v5
	s_delay_alu instid0(VALU_DEP_1) | instskip(SKIP_1) | instid1(VALU_DEP_2)
	v_fmac_f32_e32 v4, v6, v3
	v_mul_f32_e32 v6, 0xbfb8aa3b, v1
	v_fma_f32 v2, -v2, v4, v5
	v_mul_f32_e32 v5, 0x4f800000, v1
	s_delay_alu instid0(VALU_DEP_3) | instskip(SKIP_1) | instid1(VALU_DEP_4)
	v_rndne_f32_e32 v7, v6
	v_fma_f32 v8, 0xbfb8aa3b, v1, -v6
	v_div_fmas_f32 v2, v2, v3, v4
	v_cmp_gt_f32_e32 vcc_lo, 0xf800000, v1
	s_delay_alu instid0(VALU_DEP_4) | instskip(NEXT) | instid1(VALU_DEP_4)
	v_sub_f32_e32 v6, v6, v7
	v_fmamk_f32 v8, v1, 0xb2a5705f, v8
	v_cvt_i32_f32_e32 v7, v7
	v_div_fixup_f32 v2, v2, v1, 0x41000000
	s_delay_alu instid0(VALU_DEP_3) | instskip(NEXT) | instid1(VALU_DEP_2)
	v_dual_cndmask_b32 v5, v1, v5 :: v_dual_add_f32 v6, v6, v8
	v_add_f32_e32 v2, -2.0, v2
	s_delay_alu instid0(VALU_DEP_2) | instskip(NEXT) | instid1(VALU_DEP_2)
	v_sqrt_f32_e32 v9, v5
	v_exp_f32_e32 v6, v6
	s_delay_alu instid0(VALU_DEP_1) | instskip(NEXT) | instid1(VALU_DEP_1)
	v_fmaak_f32 v3, s2, v2, 0xa397f665
	v_fmaak_f32 v4, v2, v3, 0xa2c38d2e
	s_waitcnt_depctr 0xfff
	v_add_nc_u32_e32 v8, -1, v9
	v_add_nc_u32_e32 v10, 1, v9
	v_add_f32_e32 v4, 0x24704972, v4
	s_delay_alu instid0(VALU_DEP_3) | instskip(NEXT) | instid1(VALU_DEP_3)
	v_fma_f32 v11, -v8, v9, v5
	v_fma_f32 v12, -v10, v9, v5
	s_delay_alu instid0(VALU_DEP_3) | instskip(NEXT) | instid1(VALU_DEP_3)
	v_fma_f32 v3, v2, v4, -v3
	v_cmp_ge_f32_e64 s2, 0, v11
	s_delay_alu instid0(VALU_DEP_2) | instskip(NEXT) | instid1(VALU_DEP_2)
	v_add_f32_e32 v3, 0xa5417ca4, v3
	v_cndmask_b32_e64 v8, v9, v8, s2
	v_cmp_lt_f32_e64 s2, 0, v12
	s_delay_alu instid0(VALU_DEP_3) | instskip(NEXT) | instid1(VALU_DEP_1)
	v_fma_f32 v4, v2, v3, -v4
	v_add_f32_e32 v4, 0x261edfcb, v4
	s_delay_alu instid0(VALU_DEP_1) | instskip(NEXT) | instid1(VALU_DEP_1)
	v_fma_f32 v3, v2, v4, -v3
	v_add_f32_e32 v3, 0xa7053487, v3
	s_delay_alu instid0(VALU_DEP_1) | instskip(NEXT) | instid1(VALU_DEP_1)
	v_fma_f32 v4, v2, v3, -v4
	v_add_f32_e32 v4, 0x27e46ce2, v4
	s_delay_alu instid0(VALU_DEP_1) | instskip(NEXT) | instid1(VALU_DEP_1)
	v_fma_f32 v3, v2, v4, -v3
	v_add_f32_e32 v3, 0xa8c8a2f6, v3
	s_delay_alu instid0(VALU_DEP_1) | instskip(NEXT) | instid1(VALU_DEP_1)
	v_fma_f32 v4, v2, v3, -v4
	v_add_f32_e32 v4, 0x29b4e276, v4
	s_delay_alu instid0(VALU_DEP_1) | instskip(NEXT) | instid1(VALU_DEP_1)
	v_fma_f32 v3, v2, v4, -v3
	v_add_f32_e32 v3, 0xaaa7c3b9, v3
	s_delay_alu instid0(VALU_DEP_1) | instskip(NEXT) | instid1(VALU_DEP_1)
	v_fma_f32 v4, v2, v3, -v4
	v_add_f32_e32 v4, 0x2ba07d19, v4
	s_delay_alu instid0(VALU_DEP_1) | instskip(NEXT) | instid1(VALU_DEP_1)
	v_fma_f32 v3, v2, v4, -v3
	v_add_f32_e32 v3, 0xac9ed7e2, v3
	s_delay_alu instid0(VALU_DEP_1) | instskip(NEXT) | instid1(VALU_DEP_1)
	v_fma_f32 v4, v2, v3, -v4
	v_add_f32_e32 v4, 0x2da34042, v4
	s_delay_alu instid0(VALU_DEP_1) | instskip(NEXT) | instid1(VALU_DEP_1)
	v_fma_f32 v3, v2, v4, -v3
	v_add_f32_e32 v3, 0xaeaefcaf, v3
	s_delay_alu instid0(VALU_DEP_1) | instskip(NEXT) | instid1(VALU_DEP_1)
	v_fma_f32 v4, v2, v3, -v4
	v_add_f32_e32 v4, 0x2fc4ab64, v4
	s_delay_alu instid0(VALU_DEP_1) | instskip(NEXT) | instid1(VALU_DEP_1)
	v_fma_f32 v3, v2, v4, -v3
	v_add_f32_e32 v3, 0xb0e94eb0, v3
	s_delay_alu instid0(VALU_DEP_1) | instskip(NEXT) | instid1(VALU_DEP_1)
	v_fma_f32 v4, v2, v3, -v4
	v_add_f32_e32 v4, 0x32134d00, v4
	s_delay_alu instid0(VALU_DEP_1) | instskip(NEXT) | instid1(VALU_DEP_1)
	v_fma_f32 v3, v2, v4, -v3
	v_add_f32_e32 v3, 0xb3482aa1, v3
	s_delay_alu instid0(VALU_DEP_1) | instskip(NEXT) | instid1(VALU_DEP_1)
	v_fma_f32 v4, v2, v3, -v4
	v_add_f32_e32 v4, 0x34948acc, v4
	s_delay_alu instid0(VALU_DEP_1) | instskip(NEXT) | instid1(VALU_DEP_1)
	v_fma_f32 v3, v2, v4, -v3
	v_add_f32_e32 v3, 0xb5f5daa4, v3
	s_delay_alu instid0(VALU_DEP_1) | instskip(NEXT) | instid1(VALU_DEP_1)
	v_fma_f32 v4, v2, v3, -v4
	v_add_f32_e32 v4, 0x376a09fe, v4
	s_delay_alu instid0(VALU_DEP_1) | instskip(NEXT) | instid1(VALU_DEP_1)
	v_fma_f32 v3, v2, v4, -v3
	v_add_f32_e32 v3, 0xb906bcbf, v3
	s_delay_alu instid0(VALU_DEP_1) | instskip(NEXT) | instid1(VALU_DEP_1)
	v_fma_f32 v4, v2, v3, -v4
	v_add_f32_e32 v4, 0x3acdc490, v4
	s_delay_alu instid0(VALU_DEP_1) | instskip(NEXT) | instid1(VALU_DEP_1)
	v_fma_f32 v3, v2, v4, -v3
	v_add_f32_e32 v3, 0xbd00cfb9, v3
	s_delay_alu instid0(VALU_DEP_1) | instskip(SKIP_3) | instid1(VALU_DEP_4)
	v_fma_f32 v2, v2, v3, -v4
	v_ldexp_f32 v3, v6, v7
	v_cndmask_b32_e64 v6, v8, v10, s2
	v_cmp_nlt_f32_e64 s2, 0x42ce8ed0, v1
	v_add_f32_e32 v2, 0x401c2ded, v2
	s_delay_alu instid0(VALU_DEP_3) | instskip(NEXT) | instid1(VALU_DEP_3)
	v_mul_f32_e32 v7, 0x37800000, v6
	v_cndmask_b32_e64 v3, 0, v3, s2
	v_cmp_ngt_f32_e64 s2, 0xc2b17218, v1
	s_delay_alu instid0(VALU_DEP_4) | instskip(NEXT) | instid1(VALU_DEP_2)
	v_sub_f32_e32 v2, v2, v4
	v_cndmask_b32_e64 v1, 0x7f800000, v3, s2
	s_delay_alu instid0(VALU_DEP_2) | instskip(SKIP_1) | instid1(VALU_DEP_2)
	v_dual_cndmask_b32 v3, v6, v7 :: v_dual_mul_f32 v2, 0.5, v2
	v_cmp_class_f32_e64 vcc_lo, v5, 0x260
	v_mul_f32_e32 v1, v1, v2
	s_delay_alu instid0(VALU_DEP_3) | instskip(NEXT) | instid1(VALU_DEP_1)
	v_cndmask_b32_e32 v3, v3, v5, vcc_lo
	v_div_scale_f32 v2, null, v3, v3, v1
	s_delay_alu instid0(VALU_DEP_1) | instskip(SKIP_2) | instid1(VALU_DEP_1)
	v_rcp_f32_e32 v4, v2
	s_waitcnt_depctr 0xfff
	v_fma_f32 v5, -v2, v4, 1.0
	v_fmac_f32_e32 v4, v5, v4
	v_div_scale_f32 v5, vcc_lo, v1, v3, v1
	s_delay_alu instid0(VALU_DEP_1) | instskip(NEXT) | instid1(VALU_DEP_1)
	v_mul_f32_e32 v6, v5, v4
	v_fma_f32 v7, -v2, v6, v5
	s_delay_alu instid0(VALU_DEP_1) | instskip(NEXT) | instid1(VALU_DEP_1)
	v_fmac_f32_e32 v6, v7, v4
	v_fma_f32 v2, -v2, v6, v5
	s_delay_alu instid0(VALU_DEP_1) | instskip(NEXT) | instid1(VALU_DEP_1)
	v_div_fmas_f32 v2, v2, v4, v6
	v_div_fixup_f32 v2, v2, v3, v1
.LBB19_210:
	s_or_b32 exec_lo, exec_lo, s7
.LBB19_211:
	s_delay_alu instid0(SALU_CYCLE_1)
	s_or_b32 exec_lo, exec_lo, s6
.LBB19_212:
	s_delay_alu instid0(SALU_CYCLE_1)
	s_or_b32 exec_lo, exec_lo, s3
	global_store_b32 v0, v2, s[4:5]
	s_or_b32 exec_lo, exec_lo, s20
                                        ; implicit-def: $vgpr8
                                        ; implicit-def: $vgpr2
	s_and_not1_saveexec_b32 s2, s25
	s_cbranch_execz .LBB19_166
	s_branch .LBB19_8
	.section	.rodata,"a",@progbits
	.p2align	6, 0x0
	.amdhsa_kernel _ZN2at6native32elementwise_kernel_manual_unrollILi128ELi4EZNS0_22gpu_kernel_impl_nocastIZZZNS0_12_GLOBAL__N_130modified_bessel_k0_kernel_cudaERNS_18TensorIteratorBaseEENKUlvE_clEvENKUlvE0_clEvEUlfE_EEvS5_RKT_EUlibE_EEviT1_
		.amdhsa_group_segment_fixed_size 0
		.amdhsa_private_segment_fixed_size 0
		.amdhsa_kernarg_size 360
		.amdhsa_user_sgpr_count 15
		.amdhsa_user_sgpr_dispatch_ptr 0
		.amdhsa_user_sgpr_queue_ptr 0
		.amdhsa_user_sgpr_kernarg_segment_ptr 1
		.amdhsa_user_sgpr_dispatch_id 0
		.amdhsa_user_sgpr_private_segment_size 0
		.amdhsa_wavefront_size32 1
		.amdhsa_uses_dynamic_stack 0
		.amdhsa_enable_private_segment 0
		.amdhsa_system_sgpr_workgroup_id_x 1
		.amdhsa_system_sgpr_workgroup_id_y 0
		.amdhsa_system_sgpr_workgroup_id_z 0
		.amdhsa_system_sgpr_workgroup_info 0
		.amdhsa_system_vgpr_workitem_id 0
		.amdhsa_next_free_vgpr 30
		.amdhsa_next_free_sgpr 56
		.amdhsa_reserve_vcc 1
		.amdhsa_float_round_mode_32 0
		.amdhsa_float_round_mode_16_64 0
		.amdhsa_float_denorm_mode_32 3
		.amdhsa_float_denorm_mode_16_64 3
		.amdhsa_dx10_clamp 1
		.amdhsa_ieee_mode 1
		.amdhsa_fp16_overflow 0
		.amdhsa_workgroup_processor_mode 1
		.amdhsa_memory_ordered 1
		.amdhsa_forward_progress 0
		.amdhsa_shared_vgpr_count 0
		.amdhsa_exception_fp_ieee_invalid_op 0
		.amdhsa_exception_fp_denorm_src 0
		.amdhsa_exception_fp_ieee_div_zero 0
		.amdhsa_exception_fp_ieee_overflow 0
		.amdhsa_exception_fp_ieee_underflow 0
		.amdhsa_exception_fp_ieee_inexact 0
		.amdhsa_exception_int_div_zero 0
	.end_amdhsa_kernel
	.section	.text._ZN2at6native32elementwise_kernel_manual_unrollILi128ELi4EZNS0_22gpu_kernel_impl_nocastIZZZNS0_12_GLOBAL__N_130modified_bessel_k0_kernel_cudaERNS_18TensorIteratorBaseEENKUlvE_clEvENKUlvE0_clEvEUlfE_EEvS5_RKT_EUlibE_EEviT1_,"axG",@progbits,_ZN2at6native32elementwise_kernel_manual_unrollILi128ELi4EZNS0_22gpu_kernel_impl_nocastIZZZNS0_12_GLOBAL__N_130modified_bessel_k0_kernel_cudaERNS_18TensorIteratorBaseEENKUlvE_clEvENKUlvE0_clEvEUlfE_EEvS5_RKT_EUlibE_EEviT1_,comdat
.Lfunc_end19:
	.size	_ZN2at6native32elementwise_kernel_manual_unrollILi128ELi4EZNS0_22gpu_kernel_impl_nocastIZZZNS0_12_GLOBAL__N_130modified_bessel_k0_kernel_cudaERNS_18TensorIteratorBaseEENKUlvE_clEvENKUlvE0_clEvEUlfE_EEvS5_RKT_EUlibE_EEviT1_, .Lfunc_end19-_ZN2at6native32elementwise_kernel_manual_unrollILi128ELi4EZNS0_22gpu_kernel_impl_nocastIZZZNS0_12_GLOBAL__N_130modified_bessel_k0_kernel_cudaERNS_18TensorIteratorBaseEENKUlvE_clEvENKUlvE0_clEvEUlfE_EEvS5_RKT_EUlibE_EEviT1_
                                        ; -- End function
	.section	.AMDGPU.csdata,"",@progbits
; Kernel info:
; codeLenInByte = 37252
; NumSgprs: 58
; NumVgprs: 30
; ScratchSize: 0
; MemoryBound: 0
; FloatMode: 240
; IeeeMode: 1
; LDSByteSize: 0 bytes/workgroup (compile time only)
; SGPRBlocks: 7
; VGPRBlocks: 3
; NumSGPRsForWavesPerEU: 58
; NumVGPRsForWavesPerEU: 30
; Occupancy: 16
; WaveLimiterHint : 1
; COMPUTE_PGM_RSRC2:SCRATCH_EN: 0
; COMPUTE_PGM_RSRC2:USER_SGPR: 15
; COMPUTE_PGM_RSRC2:TRAP_HANDLER: 0
; COMPUTE_PGM_RSRC2:TGID_X_EN: 1
; COMPUTE_PGM_RSRC2:TGID_Y_EN: 0
; COMPUTE_PGM_RSRC2:TGID_Z_EN: 0
; COMPUTE_PGM_RSRC2:TIDIG_COMP_CNT: 0
	.text
	.p2align	2                               ; -- Begin function _ZN2at6native6invokeIZZZNS0_12_GLOBAL__N_130modified_bessel_k0_kernel_cudaERNS_18TensorIteratorBaseEENKUlvE_clEvENKUlvE0_clEvEUlfE_i15function_traitsIS7_EEENT1_11result_typeERKT_PrKPcPKT0_PKN3c1010ScalarTypeEi
	.type	_ZN2at6native6invokeIZZZNS0_12_GLOBAL__N_130modified_bessel_k0_kernel_cudaERNS_18TensorIteratorBaseEENKUlvE_clEvENKUlvE0_clEvEUlfE_i15function_traitsIS7_EEENT1_11result_typeERKT_PrKPcPKT0_PKN3c1010ScalarTypeEi,@function
_ZN2at6native6invokeIZZZNS0_12_GLOBAL__N_130modified_bessel_k0_kernel_cudaERNS_18TensorIteratorBaseEENKUlvE_clEvENKUlvE0_clEvEUlfE_i15function_traitsIS7_EEENT1_11result_typeERKT_PrKPcPKT0_PKN3c1010ScalarTypeEi: ; @_ZN2at6native6invokeIZZZNS0_12_GLOBAL__N_130modified_bessel_k0_kernel_cudaERNS_18TensorIteratorBaseEENKUlvE_clEvENKUlvE0_clEvEUlfE_i15function_traitsIS7_EEENT1_11result_typeERKT_PrKPcPKT0_PKN3c1010ScalarTypeEi
; %bb.0:
	s_waitcnt vmcnt(0) expcnt(0) lgkmcnt(0)
	v_mul_lo_u32 v2, v4, v2
	v_and_b32_e32 v3, 0xff, v3
	s_mov_b32 s2, 0
	s_mov_b32 s0, exec_lo
	s_delay_alu instid0(VALU_DEP_2) | instskip(SKIP_1) | instid1(VALU_DEP_2)
	v_ashrrev_i32_e32 v4, 31, v2
	v_add_co_u32 v0, vcc_lo, v0, v2
                                        ; implicit-def: $vgpr2
	v_add_co_ci_u32_e32 v1, vcc_lo, v1, v4, vcc_lo
	v_cmpx_lt_i16_e32 10, v3
	s_xor_b32 s0, exec_lo, s0
	s_cbranch_execz .LBB20_7
; %bb.1:
	s_mov_b32 s1, 0
	s_mov_b32 s4, 0
	s_mov_b32 s3, exec_lo
                                        ; implicit-def: $vgpr2
	v_cmpx_lt_i16_e32 25, v3
	s_xor_b32 s3, exec_lo, s3
	s_cbranch_execnz .LBB20_64
; %bb.2:
	s_and_not1_saveexec_b32 s3, s3
	s_cbranch_execnz .LBB20_95
.LBB20_3:
	s_or_b32 exec_lo, exec_lo, s3
	s_and_saveexec_b32 s3, s4
	s_cbranch_execnz .LBB20_118
.LBB20_4:
	s_or_b32 exec_lo, exec_lo, s3
	s_and_saveexec_b32 s3, s1
	s_delay_alu instid0(SALU_CYCLE_1)
	s_xor_b32 s1, exec_lo, s3
	s_cbranch_execz .LBB20_6
.LBB20_5:
	flat_load_u8 v0, v[0:1]
	s_or_b32 s2, s2, exec_lo
	s_waitcnt vmcnt(0) lgkmcnt(0)
	v_cmp_ne_u16_e32 vcc_lo, 0, v0
	v_cndmask_b32_e64 v2, 0, 1.0, vcc_lo
.LBB20_6:
	s_or_b32 exec_lo, exec_lo, s1
	s_delay_alu instid0(SALU_CYCLE_1)
	s_and_b32 s2, s2, exec_lo
                                        ; implicit-def: $vgpr3
                                        ; implicit-def: $vgpr0_vgpr1
.LBB20_7:
	s_and_not1_saveexec_b32 s0, s0
	s_cbranch_execnz .LBB20_10
; %bb.8:
	s_or_b32 exec_lo, exec_lo, s0
                                        ; implicit-def: $vgpr0
	s_and_saveexec_b32 s1, s2
	s_cbranch_execnz .LBB20_51
.LBB20_9:
	s_or_b32 exec_lo, exec_lo, s1
	s_waitcnt vmcnt(0) lgkmcnt(0)
	s_setpc_b64 s[30:31]
.LBB20_10:
	s_mov_b32 s1, exec_lo
                                        ; implicit-def: $vgpr2
	v_cmpx_lt_i16_e32 4, v3
	s_xor_b32 s1, exec_lo, s1
	s_cbranch_execz .LBB20_32
; %bb.11:
	s_mov_b32 s3, exec_lo
                                        ; implicit-def: $vgpr2
	v_cmpx_lt_i16_e32 7, v3
	s_xor_b32 s3, exec_lo, s3
	s_cbranch_execz .LBB20_21
; %bb.12:
	;; [unrolled: 6-line block ×4, first 2 shown]
	flat_load_b64 v[0:1], v[0:1]
	s_waitcnt vmcnt(0) lgkmcnt(0)
	v_cvt_f32_f64_e32 v2, v[0:1]
                                        ; implicit-def: $vgpr0_vgpr1
.LBB20_15:
	s_and_not1_saveexec_b32 s5, s5
	s_cbranch_execz .LBB20_17
; %bb.16:
	flat_load_b32 v2, v[0:1]
.LBB20_17:
	s_or_b32 exec_lo, exec_lo, s5
                                        ; implicit-def: $vgpr0_vgpr1
.LBB20_18:
	s_and_not1_saveexec_b32 s4, s4
	s_cbranch_execz .LBB20_20
; %bb.19:
	flat_load_b32 v0, v[0:1]
	s_waitcnt vmcnt(0) lgkmcnt(0)
	v_cvt_f32_f16_e32 v2, v0
.LBB20_20:
	s_or_b32 exec_lo, exec_lo, s4
                                        ; implicit-def: $vgpr0_vgpr1
                                        ; implicit-def: $vgpr3
.LBB20_21:
	s_and_not1_saveexec_b32 s3, s3
	s_cbranch_execz .LBB20_31
; %bb.22:
	s_mov_b32 s4, exec_lo
                                        ; implicit-def: $vgpr2
	v_cmpx_lt_i16_e32 5, v3
	s_xor_b32 s4, exec_lo, s4
	s_cbranch_execz .LBB20_28
; %bb.23:
	s_mov_b32 s5, exec_lo
                                        ; implicit-def: $vgpr2
	v_cmpx_lt_i16_e32 6, v3
	s_xor_b32 s5, exec_lo, s5
	s_cbranch_execz .LBB20_25
; %bb.24:
	flat_load_b64 v[0:1], v[0:1]
	s_waitcnt vmcnt(0) lgkmcnt(0)
	v_cvt_f32_f64_e32 v2, v[0:1]
                                        ; implicit-def: $vgpr0_vgpr1
.LBB20_25:
	s_and_not1_saveexec_b32 s5, s5
	s_cbranch_execz .LBB20_27
; %bb.26:
	s_waitcnt vmcnt(0) lgkmcnt(0)
	flat_load_b32 v2, v[0:1]
.LBB20_27:
	s_or_b32 exec_lo, exec_lo, s5
                                        ; implicit-def: $vgpr0_vgpr1
.LBB20_28:
	s_and_not1_saveexec_b32 s4, s4
	s_cbranch_execz .LBB20_30
; %bb.29:
	flat_load_u16 v0, v[0:1]
	s_waitcnt vmcnt(0) lgkmcnt(0)
	v_cvt_f32_f16_e32 v2, v0
.LBB20_30:
	s_or_b32 exec_lo, exec_lo, s4
.LBB20_31:
	s_delay_alu instid0(SALU_CYCLE_1)
	s_or_b32 exec_lo, exec_lo, s3
                                        ; implicit-def: $vgpr3
                                        ; implicit-def: $vgpr0_vgpr1
.LBB20_32:
	s_and_not1_saveexec_b32 s1, s1
	s_cbranch_execz .LBB20_50
; %bb.33:
	s_mov_b32 s3, exec_lo
                                        ; implicit-def: $vgpr2
	v_cmpx_lt_i16_e32 1, v3
	s_xor_b32 s3, exec_lo, s3
	s_cbranch_execz .LBB20_43
; %bb.34:
	s_mov_b32 s4, exec_lo
                                        ; implicit-def: $vgpr2
	v_cmpx_lt_i16_e32 2, v3
	s_xor_b32 s4, exec_lo, s4
	;; [unrolled: 6-line block ×3, first 2 shown]
	s_cbranch_execz .LBB20_37
; %bb.36:
	flat_load_b64 v[0:1], v[0:1]
	s_waitcnt vmcnt(0) lgkmcnt(0)
	v_xor_b32_e32 v2, v0, v1
	v_cls_i32_e32 v3, v1
	s_delay_alu instid0(VALU_DEP_2) | instskip(NEXT) | instid1(VALU_DEP_2)
	v_ashrrev_i32_e32 v2, 31, v2
	v_add_nc_u32_e32 v3, -1, v3
	s_delay_alu instid0(VALU_DEP_2) | instskip(NEXT) | instid1(VALU_DEP_1)
	v_add_nc_u32_e32 v2, 32, v2
	v_min_u32_e32 v2, v3, v2
	s_delay_alu instid0(VALU_DEP_1) | instskip(NEXT) | instid1(VALU_DEP_1)
	v_lshlrev_b64 v[0:1], v2, v[0:1]
	v_min_u32_e32 v0, 1, v0
	s_delay_alu instid0(VALU_DEP_1) | instskip(SKIP_1) | instid1(VALU_DEP_2)
	v_or_b32_e32 v0, v1, v0
	v_sub_nc_u32_e32 v1, 32, v2
	v_cvt_f32_i32_e32 v0, v0
	s_delay_alu instid0(VALU_DEP_1)
	v_ldexp_f32 v2, v0, v1
                                        ; implicit-def: $vgpr0_vgpr1
.LBB20_37:
	s_and_not1_saveexec_b32 s5, s5
	s_cbranch_execz .LBB20_39
; %bb.38:
	flat_load_b32 v0, v[0:1]
	s_waitcnt vmcnt(0) lgkmcnt(0)
	v_cvt_f32_i32_e32 v2, v0
.LBB20_39:
	s_or_b32 exec_lo, exec_lo, s5
                                        ; implicit-def: $vgpr0_vgpr1
.LBB20_40:
	s_and_not1_saveexec_b32 s4, s4
	s_cbranch_execz .LBB20_42
; %bb.41:
	flat_load_i16 v0, v[0:1]
	s_waitcnt vmcnt(0) lgkmcnt(0)
	v_cvt_f32_i32_e32 v2, v0
.LBB20_42:
	s_or_b32 exec_lo, exec_lo, s4
                                        ; implicit-def: $vgpr0_vgpr1
                                        ; implicit-def: $vgpr3
.LBB20_43:
	s_and_not1_saveexec_b32 s3, s3
	s_cbranch_execz .LBB20_49
; %bb.44:
	s_mov_b32 s4, exec_lo
                                        ; implicit-def: $vgpr2
	v_cmpx_lt_i16_e32 0, v3
	s_xor_b32 s4, exec_lo, s4
	s_cbranch_execz .LBB20_46
; %bb.45:
	flat_load_i8 v0, v[0:1]
	s_waitcnt vmcnt(0) lgkmcnt(0)
	v_cvt_f32_i32_e32 v2, v0
                                        ; implicit-def: $vgpr0_vgpr1
.LBB20_46:
	s_and_not1_saveexec_b32 s4, s4
	s_cbranch_execz .LBB20_48
; %bb.47:
	flat_load_u8 v0, v[0:1]
	s_waitcnt vmcnt(0) lgkmcnt(0)
	v_cvt_f32_ubyte0_e32 v2, v0
.LBB20_48:
	s_or_b32 exec_lo, exec_lo, s4
.LBB20_49:
	s_delay_alu instid0(SALU_CYCLE_1)
	s_or_b32 exec_lo, exec_lo, s3
.LBB20_50:
	s_delay_alu instid0(SALU_CYCLE_1) | instskip(NEXT) | instid1(SALU_CYCLE_1)
	s_or_b32 exec_lo, exec_lo, s1
	s_or_b32 s2, s2, exec_lo
	s_or_b32 exec_lo, exec_lo, s0
                                        ; implicit-def: $vgpr0
	s_and_saveexec_b32 s1, s2
	s_cbranch_execz .LBB20_9
.LBB20_51:
	v_mov_b32_e32 v0, 0x7f800000
	s_mov_b32 s2, exec_lo
	s_waitcnt vmcnt(0) lgkmcnt(0)
	s_delay_alu instid0(VALU_DEP_2)
	v_cmpx_neq_f32_e32 0, v2
	s_cbranch_execz .LBB20_63
; %bb.52:
	v_mov_b32_e32 v0, 0x7fc00000
	s_mov_b32 s3, exec_lo
	v_cmpx_ngt_f32_e32 0, v2
	s_cbranch_execz .LBB20_62
; %bb.53:
                                        ; implicit-def: $vgpr0
	s_mov_b32 s0, exec_lo
	v_cmpx_ge_f32_e32 2.0, v2
	s_xor_b32 s4, exec_lo, s0
	s_cbranch_execz .LBB20_59
; %bb.54:
	s_mov_b32 s0, exec_lo
                                        ; implicit-def: $vgpr0
	v_cmpx_ge_f32_e32 0x41000000, v2
	s_xor_b32 s0, exec_lo, s0
	s_cbranch_execz .LBB20_56
; %bb.55:
	v_fma_f32 v0, v2, 0.5, -2.0
	v_cmp_ngt_f32_e32 vcc_lo, 0xc2ce8ed0, v2
	v_mul_f32_e32 v4, 0x3fb8aa3b, v2
	s_mov_b32 s5, 0xa2a2e5b9
	s_delay_alu instid0(VALU_DEP_1) | instskip(SKIP_2) | instid1(VALU_DEP_3)
	v_rndne_f32_e32 v5, v4
	v_fmaak_f32 v1, s5, v0, 0x24199b15
	v_fma_f32 v6, 0x3fb8aa3b, v2, -v4
	v_sub_f32_e32 v4, v4, v5
	s_delay_alu instid0(VALU_DEP_3) | instskip(NEXT) | instid1(VALU_DEP_3)
	v_fmaak_f32 v3, v0, v1, 0x22a2e5b9
	v_fmamk_f32 v6, v2, 0x32a5705f, v6
	v_cvt_i32_f32_e32 v5, v5
	s_delay_alu instid0(VALU_DEP_2) | instskip(NEXT) | instid1(VALU_DEP_1)
	v_dual_add_f32 v3, 0xa58c275c, v3 :: v_dual_add_f32 v4, v4, v6
	v_fma_f32 v1, v0, v3, -v1
	s_delay_alu instid0(VALU_DEP_2) | instskip(NEXT) | instid1(VALU_DEP_1)
	v_exp_f32_e32 v4, v4
	v_add_f32_e32 v1, 0x26f736c5, v1
	s_delay_alu instid0(VALU_DEP_1) | instskip(NEXT) | instid1(VALU_DEP_1)
	v_fma_f32 v3, v0, v1, -v3
	v_add_f32_e32 v3, 0xa8528116, v3
	s_delay_alu instid0(VALU_DEP_1) | instskip(NEXT) | instid1(VALU_DEP_1)
	v_fma_f32 v1, v0, v3, -v1
	;; [unrolled: 3-line block ×25, first 2 shown]
	v_add_f32_e32 v3, 0xbe9bff5e, v3
	s_delay_alu instid0(VALU_DEP_1) | instskip(SKIP_1) | instid1(VALU_DEP_1)
	v_fma_f32 v0, v0, v3, -v1
	v_ldexp_f32 v3, v4, v5
	v_dual_add_f32 v0, 0x3f2d4275, v0 :: v_dual_cndmask_b32 v3, 0, v3
	v_cmp_nlt_f32_e32 vcc_lo, 0x42b17218, v2
	s_delay_alu instid0(VALU_DEP_2) | instskip(NEXT) | instid1(VALU_DEP_1)
	v_dual_sub_f32 v0, v0, v1 :: v_dual_cndmask_b32 v1, 0x7f800000, v3
	v_mul_f32_e32 v0, 0.5, v0
	s_delay_alu instid0(VALU_DEP_1)
	v_mul_f32_e32 v0, v1, v0
.LBB20_56:
	s_and_not1_saveexec_b32 s5, s0
	s_cbranch_execz .LBB20_58
; %bb.57:
	v_div_scale_f32 v0, null, v2, v2, 0x42000000
	v_div_scale_f32 v4, vcc_lo, 0x42000000, v2, 0x42000000
	s_mov_b32 s0, 0xa3056dbb
	s_delay_alu instid0(VALU_DEP_2) | instskip(SKIP_2) | instid1(VALU_DEP_1)
	v_rcp_f32_e32 v1, v0
	s_waitcnt_depctr 0xfff
	v_fma_f32 v3, -v0, v1, 1.0
	v_fmac_f32_e32 v1, v3, v1
	s_delay_alu instid0(VALU_DEP_1) | instskip(NEXT) | instid1(VALU_DEP_1)
	v_mul_f32_e32 v3, v4, v1
	v_fma_f32 v5, -v0, v3, v4
	s_delay_alu instid0(VALU_DEP_1) | instskip(SKIP_1) | instid1(VALU_DEP_2)
	v_fmac_f32_e32 v3, v5, v1
	v_mul_f32_e32 v5, 0x3fb8aa3b, v2
	v_fma_f32 v0, -v0, v3, v4
	v_mul_f32_e32 v4, 0x4f800000, v2
	s_delay_alu instid0(VALU_DEP_3) | instskip(SKIP_1) | instid1(VALU_DEP_4)
	v_rndne_f32_e32 v6, v5
	v_fma_f32 v7, 0x3fb8aa3b, v2, -v5
	v_div_fmas_f32 v0, v0, v1, v3
	v_cmp_gt_f32_e32 vcc_lo, 0xf800000, v2
	s_delay_alu instid0(VALU_DEP_3) | instskip(NEXT) | instid1(VALU_DEP_3)
	v_fmamk_f32 v7, v2, 0x32a5705f, v7
	v_div_fixup_f32 v0, v0, v2, 0x42000000
	v_cndmask_b32_e32 v4, v2, v4, vcc_lo
	s_delay_alu instid0(VALU_DEP_2) | instskip(NEXT) | instid1(VALU_DEP_2)
	v_add_f32_e32 v0, -2.0, v0
	v_sqrt_f32_e32 v8, v4
	s_delay_alu instid0(VALU_DEP_1) | instskip(NEXT) | instid1(VALU_DEP_1)
	v_fmaak_f32 v1, s0, v0, 0xa2b236d3
	v_fmaak_f32 v3, v0, v1, 0x23056dbb
	s_waitcnt_depctr 0xfff
	v_add_nc_u32_e32 v9, 1, v8
	v_add_f32_e32 v3, 0x244df0c1, v3
	s_delay_alu instid0(VALU_DEP_2) | instskip(NEXT) | instid1(VALU_DEP_2)
	v_fma_f32 v11, -v9, v8, v4
	v_fma_f32 v1, v0, v3, -v1
	s_delay_alu instid0(VALU_DEP_1) | instskip(NEXT) | instid1(VALU_DEP_1)
	v_add_f32_e32 v1, 0x241f9ee8, v1
	v_fma_f32 v3, v0, v1, -v3
	s_delay_alu instid0(VALU_DEP_1) | instskip(NEXT) | instid1(VALU_DEP_1)
	v_add_f32_e32 v3, 0xa5a3005d, v3
	v_fma_f32 v1, v0, v3, -v1
	s_delay_alu instid0(VALU_DEP_1) | instskip(NEXT) | instid1(VALU_DEP_1)
	v_add_f32_e32 v1, 0xa5c5773f, v1
	v_fma_f32 v3, v0, v1, -v3
	s_delay_alu instid0(VALU_DEP_1) | instskip(NEXT) | instid1(VALU_DEP_1)
	v_add_f32_e32 v3, 0x26ff73ed, v3
	v_fma_f32 v1, v0, v3, -v1
	s_delay_alu instid0(VALU_DEP_1) | instskip(NEXT) | instid1(VALU_DEP_1)
	v_add_f32_e32 v1, 0x2789548d, v1
	v_fma_f32 v3, v0, v1, -v3
	s_delay_alu instid0(VALU_DEP_1) | instskip(NEXT) | instid1(VALU_DEP_1)
	v_add_f32_e32 v3, 0xa82c1ff4, v3
	v_fma_f32 v1, v0, v3, -v1
	s_delay_alu instid0(VALU_DEP_1) | instskip(NEXT) | instid1(VALU_DEP_1)
	v_add_f32_e32 v1, 0xa93aecce, v1
	v_fma_f32 v3, v0, v1, -v3
	s_delay_alu instid0(VALU_DEP_1) | instskip(NEXT) | instid1(VALU_DEP_1)
	v_add_f32_e32 v3, 0x288ab7f8, v3
	v_fma_f32 v1, v0, v3, -v1
	s_delay_alu instid0(VALU_DEP_1) | instskip(NEXT) | instid1(VALU_DEP_1)
	v_add_f32_e32 v1, 0x2ad8e463, v1
	v_fma_f32 v3, v0, v1, -v3
	s_delay_alu instid0(VALU_DEP_1) | instskip(NEXT) | instid1(VALU_DEP_1)
	v_add_f32_e32 v3, 0x2b4a1a40, v3
	v_fma_f32 v1, v0, v3, -v1
	s_delay_alu instid0(VALU_DEP_1) | instskip(NEXT) | instid1(VALU_DEP_1)
	v_add_f32_e32 v1, 0xabfc8218, v1
	v_fma_f32 v3, v0, v1, -v3
	s_delay_alu instid0(VALU_DEP_1) | instskip(NEXT) | instid1(VALU_DEP_1)
	v_add_f32_e32 v3, 0xad687eba, v3
	v_fma_f32 v1, v0, v3, -v1
	s_delay_alu instid0(VALU_DEP_1) | instskip(NEXT) | instid1(VALU_DEP_1)
	v_add_f32_e32 v1, 0xae0a88e8, v1
	v_fma_f32 v3, v0, v1, -v3
	s_delay_alu instid0(VALU_DEP_1) | instskip(NEXT) | instid1(VALU_DEP_1)
	v_add_f32_e32 v3, 0x2d5127f5, v3
	v_fma_f32 v1, v0, v3, -v1
	s_delay_alu instid0(VALU_DEP_1) | instskip(NEXT) | instid1(VALU_DEP_1)
	v_add_f32_e32 v1, 0x3007ce66, v1
	v_fma_f32 v3, v0, v1, -v3
	s_delay_alu instid0(VALU_DEP_1) | instskip(NEXT) | instid1(VALU_DEP_1)
	v_add_f32_e32 v3, 0x31696325, v3
	v_fma_f32 v1, v0, v3, -v1
	s_delay_alu instid0(VALU_DEP_1) | instskip(NEXT) | instid1(VALU_DEP_1)
	v_add_f32_e32 v1, 0x32c2b494, v1
	v_fma_f32 v3, v0, v1, -v3
	s_delay_alu instid0(VALU_DEP_1) | instskip(NEXT) | instid1(VALU_DEP_1)
	v_add_f32_e32 v3, 0x345c003f, v3
	v_fma_f32 v1, v0, v3, -v1
	s_delay_alu instid0(VALU_DEP_1) | instskip(NEXT) | instid1(VALU_DEP_1)
	v_add_f32_e32 v1, 0x3642095e, v1
	v_fma_f32 v3, v0, v1, -v3
	s_delay_alu instid0(VALU_DEP_1) | instskip(NEXT) | instid1(VALU_DEP_1)
	v_add_f32_e32 v3, 0x38907d1c, v3
	v_fma_f32 v1, v0, v3, -v1
	s_delay_alu instid0(VALU_DEP_1) | instskip(NEXT) | instid1(VALU_DEP_1)
	v_add_f32_e32 v1, 0x3b5ccc65, v1
	v_fma_f32 v0, v0, v1, -v3
	v_sub_f32_e32 v5, v5, v6
	v_cvt_i32_f32_e32 v6, v6
	s_delay_alu instid0(VALU_DEP_2) | instskip(NEXT) | instid1(VALU_DEP_1)
	v_dual_add_f32 v0, 0x3f4df315, v0 :: v_dual_add_f32 v5, v5, v7
	v_dual_sub_f32 v0, v0, v3 :: v_dual_add_nc_u32 v7, -1, v8
	s_delay_alu instid0(VALU_DEP_2) | instskip(NEXT) | instid1(VALU_DEP_1)
	v_exp_f32_e32 v5, v5
	v_fma_f32 v10, -v7, v8, v4
	s_delay_alu instid0(VALU_DEP_2) | instskip(NEXT) | instid1(VALU_DEP_2)
	v_mul_f32_e32 v0, 0.5, v0
	v_cmp_ge_f32_e64 s0, 0, v10
	s_waitcnt_depctr 0xfff
	v_ldexp_f32 v1, v5, v6
	v_cndmask_b32_e64 v7, v8, v7, s0
	v_cmp_lt_f32_e64 s0, 0, v11
	s_delay_alu instid0(VALU_DEP_1) | instskip(SKIP_1) | instid1(VALU_DEP_2)
	v_cndmask_b32_e64 v5, v7, v9, s0
	v_cmp_ngt_f32_e64 s0, 0xc2ce8ed0, v2
	v_mul_f32_e32 v6, 0x37800000, v5
	s_delay_alu instid0(VALU_DEP_2) | instskip(SKIP_1) | instid1(VALU_DEP_3)
	v_cndmask_b32_e64 v1, 0, v1, s0
	v_cmp_nlt_f32_e64 s0, 0x42b17218, v2
	v_cndmask_b32_e32 v3, v5, v6, vcc_lo
	v_cmp_class_f32_e64 vcc_lo, v4, 0x260
	s_delay_alu instid0(VALU_DEP_3) | instskip(NEXT) | instid1(VALU_DEP_3)
	v_cndmask_b32_e64 v1, 0x7f800000, v1, s0
	v_cndmask_b32_e32 v3, v3, v4, vcc_lo
	s_delay_alu instid0(VALU_DEP_2) | instskip(NEXT) | instid1(VALU_DEP_1)
	v_mul_f32_e32 v0, v1, v0
	v_div_scale_f32 v1, null, v3, v3, v0
	s_delay_alu instid0(VALU_DEP_1) | instskip(SKIP_2) | instid1(VALU_DEP_1)
	v_rcp_f32_e32 v4, v1
	s_waitcnt_depctr 0xfff
	v_fma_f32 v5, -v1, v4, 1.0
	v_fmac_f32_e32 v4, v5, v4
	v_div_scale_f32 v5, vcc_lo, v0, v3, v0
	s_delay_alu instid0(VALU_DEP_1) | instskip(NEXT) | instid1(VALU_DEP_1)
	v_mul_f32_e32 v6, v5, v4
	v_fma_f32 v7, -v1, v6, v5
	s_delay_alu instid0(VALU_DEP_1) | instskip(NEXT) | instid1(VALU_DEP_1)
	v_fmac_f32_e32 v6, v7, v4
	v_fma_f32 v1, -v1, v6, v5
	s_delay_alu instid0(VALU_DEP_1) | instskip(NEXT) | instid1(VALU_DEP_1)
	v_div_fmas_f32 v1, v1, v4, v6
	v_div_fixup_f32 v0, v1, v3, v0
.LBB20_58:
	s_or_b32 exec_lo, exec_lo, s5
	v_cvt_f64_f32_e32 v[3:4], v2
	s_mov_b32 s7, 0x3fe55555
	s_mov_b32 s6, 0x55555555
	;; [unrolled: 1-line block ×3, first 2 shown]
	v_mov_b32_e32 v7, 0
	s_mov_b32 s8, 0x6b47b09a
	s_mov_b32 s10, 0xbf559e2b
	;; [unrolled: 1-line block ×4, first 2 shown]
	s_delay_alu instid0(VALU_DEP_2) | instskip(NEXT) | instid1(VALU_DEP_1)
	v_mul_f64 v[3:4], v[3:4], 0.5
	v_frexp_mant_f64_e32 v[5:6], v[3:4]
	v_frexp_exp_i32_f64_e32 v1, v[3:4]
	s_delay_alu instid0(VALU_DEP_2) | instskip(SKIP_2) | instid1(VALU_DEP_3)
	v_cmp_gt_f64_e32 vcc_lo, s[6:7], v[5:6]
	s_mov_b32 s6, 0x55555780
	v_cndmask_b32_e64 v8, 0x3ff00000, 2.0, vcc_lo
	v_subrev_co_ci_u32_e32 v1, vcc_lo, 0, v1, vcc_lo
	v_cmp_eq_f64_e32 vcc_lo, 0x7ff00000, v[3:4]
	s_delay_alu instid0(VALU_DEP_3) | instskip(NEXT) | instid1(VALU_DEP_1)
	v_mul_f64 v[5:6], v[5:6], v[7:8]
	v_add_f64 v[7:8], v[5:6], 1.0
	v_add_f64 v[13:14], v[5:6], -1.0
	s_delay_alu instid0(VALU_DEP_2) | instskip(SKIP_1) | instid1(VALU_DEP_1)
	v_rcp_f64_e32 v[9:10], v[7:8]
	v_add_f64 v[15:16], v[7:8], -1.0
	v_add_f64 v[5:6], v[5:6], -v[15:16]
	s_waitcnt_depctr 0xfff
	v_fma_f64 v[11:12], -v[7:8], v[9:10], 1.0
	s_delay_alu instid0(VALU_DEP_1) | instskip(NEXT) | instid1(VALU_DEP_1)
	v_fma_f64 v[9:10], v[11:12], v[9:10], v[9:10]
	v_fma_f64 v[11:12], -v[7:8], v[9:10], 1.0
	s_delay_alu instid0(VALU_DEP_1) | instskip(NEXT) | instid1(VALU_DEP_1)
	v_fma_f64 v[9:10], v[11:12], v[9:10], v[9:10]
	v_mul_f64 v[11:12], v[13:14], v[9:10]
	s_delay_alu instid0(VALU_DEP_1) | instskip(NEXT) | instid1(VALU_DEP_1)
	v_mul_f64 v[17:18], v[7:8], v[11:12]
	v_fma_f64 v[7:8], v[11:12], v[7:8], -v[17:18]
	s_delay_alu instid0(VALU_DEP_1) | instskip(NEXT) | instid1(VALU_DEP_1)
	v_fma_f64 v[5:6], v[11:12], v[5:6], v[7:8]
	v_add_f64 v[7:8], v[17:18], v[5:6]
	s_delay_alu instid0(VALU_DEP_1) | instskip(SKIP_1) | instid1(VALU_DEP_2)
	v_add_f64 v[15:16], v[13:14], -v[7:8]
	v_add_f64 v[17:18], v[7:8], -v[17:18]
	;; [unrolled: 1-line block ×3, first 2 shown]
	s_delay_alu instid0(VALU_DEP_2) | instskip(NEXT) | instid1(VALU_DEP_2)
	v_add_f64 v[5:6], v[17:18], -v[5:6]
	v_add_f64 v[7:8], v[13:14], -v[7:8]
	s_delay_alu instid0(VALU_DEP_1) | instskip(NEXT) | instid1(VALU_DEP_1)
	v_add_f64 v[5:6], v[5:6], v[7:8]
	v_add_f64 v[5:6], v[15:16], v[5:6]
	s_delay_alu instid0(VALU_DEP_1) | instskip(NEXT) | instid1(VALU_DEP_1)
	v_mul_f64 v[5:6], v[9:10], v[5:6]
	v_add_f64 v[7:8], v[11:12], v[5:6]
	s_delay_alu instid0(VALU_DEP_1) | instskip(NEXT) | instid1(VALU_DEP_1)
	v_mul_f64 v[9:10], v[7:8], v[7:8]
	v_fma_f64 v[13:14], v[9:10], s[10:11], s[8:9]
	s_mov_b32 s8, 0xd7f4df2e
	s_mov_b32 s9, 0x3fc7474d
	v_mul_f64 v[15:16], v[7:8], v[9:10]
	s_delay_alu instid0(VALU_DEP_2)
	v_fma_f64 v[13:14], v[9:10], v[13:14], s[8:9]
	s_mov_b32 s8, 0x16291751
	s_mov_b32 s9, 0x3fcc71c0
	s_delay_alu instid0(VALU_DEP_1) | instid1(SALU_CYCLE_1)
	v_fma_f64 v[13:14], v[9:10], v[13:14], s[8:9]
	s_mov_b32 s8, 0x9b27acf1
	s_mov_b32 s9, 0x3fd24924
	s_delay_alu instid0(VALU_DEP_1) | instid1(SALU_CYCLE_1)
	;; [unrolled: 4-line block ×3, first 2 shown]
	v_fma_f64 v[13:14], v[9:10], v[13:14], s[8:9]
	s_delay_alu instid0(VALU_DEP_1) | instskip(SKIP_4) | instid1(VALU_DEP_3)
	v_fma_f64 v[9:10], v[9:10], v[13:14], s[6:7]
	v_ldexp_f64 v[13:14], v[7:8], 1
	v_add_f64 v[7:8], v[7:8], -v[11:12]
	s_mov_b32 s6, 0xfefa39ef
	s_mov_b32 s7, 0x3fe62e42
	v_mul_f64 v[9:10], v[15:16], v[9:10]
	v_cvt_f64_i32_e32 v[15:16], v1
	s_delay_alu instid0(VALU_DEP_3) | instskip(NEXT) | instid1(VALU_DEP_3)
	v_add_f64 v[5:6], v[5:6], -v[7:8]
	v_add_f64 v[11:12], v[13:14], v[9:10]
	s_delay_alu instid0(VALU_DEP_3) | instskip(NEXT) | instid1(VALU_DEP_3)
	v_mul_f64 v[17:18], v[15:16], s[6:7]
	v_ldexp_f64 v[5:6], v[5:6], 1
	s_delay_alu instid0(VALU_DEP_3) | instskip(NEXT) | instid1(VALU_DEP_3)
	v_add_f64 v[7:8], v[11:12], -v[13:14]
	v_fma_f64 v[13:14], v[15:16], s[6:7], -v[17:18]
	s_mov_b32 s6, 0x3b39803f
	s_mov_b32 s7, 0x3c7abc9e
	s_delay_alu instid0(VALU_DEP_2) | instskip(NEXT) | instid1(VALU_DEP_2)
	v_add_f64 v[7:8], v[9:10], -v[7:8]
	v_fma_f64 v[9:10], v[15:16], s[6:7], v[13:14]
	s_delay_alu instid0(VALU_DEP_2) | instskip(NEXT) | instid1(VALU_DEP_2)
	v_add_f64 v[5:6], v[5:6], v[7:8]
	v_add_f64 v[7:8], v[17:18], v[9:10]
	s_delay_alu instid0(VALU_DEP_2) | instskip(NEXT) | instid1(VALU_DEP_2)
	v_add_f64 v[13:14], v[11:12], v[5:6]
	v_add_f64 v[17:18], v[7:8], -v[17:18]
	s_delay_alu instid0(VALU_DEP_2) | instskip(SKIP_1) | instid1(VALU_DEP_3)
	v_add_f64 v[15:16], v[7:8], v[13:14]
	v_add_f64 v[11:12], v[13:14], -v[11:12]
	v_add_f64 v[9:10], v[9:10], -v[17:18]
	s_delay_alu instid0(VALU_DEP_3) | instskip(NEXT) | instid1(VALU_DEP_3)
	v_add_f64 v[19:20], v[15:16], -v[7:8]
	v_add_f64 v[5:6], v[5:6], -v[11:12]
	s_delay_alu instid0(VALU_DEP_2) | instskip(SKIP_1) | instid1(VALU_DEP_3)
	v_add_f64 v[21:22], v[15:16], -v[19:20]
	v_add_f64 v[11:12], v[13:14], -v[19:20]
	v_add_f64 v[13:14], v[9:10], v[5:6]
	s_delay_alu instid0(VALU_DEP_3) | instskip(NEXT) | instid1(VALU_DEP_1)
	v_add_f64 v[7:8], v[7:8], -v[21:22]
	v_add_f64 v[7:8], v[11:12], v[7:8]
	s_delay_alu instid0(VALU_DEP_3) | instskip(NEXT) | instid1(VALU_DEP_2)
	v_add_f64 v[11:12], v[13:14], -v[9:10]
	v_add_f64 v[7:8], v[13:14], v[7:8]
	s_delay_alu instid0(VALU_DEP_2) | instskip(SKIP_1) | instid1(VALU_DEP_3)
	v_add_f64 v[13:14], v[13:14], -v[11:12]
	v_add_f64 v[5:6], v[5:6], -v[11:12]
	v_add_f64 v[17:18], v[15:16], v[7:8]
	s_delay_alu instid0(VALU_DEP_3) | instskip(NEXT) | instid1(VALU_DEP_2)
	v_add_f64 v[9:10], v[9:10], -v[13:14]
	v_add_f64 v[11:12], v[17:18], -v[15:16]
	s_delay_alu instid0(VALU_DEP_2) | instskip(SKIP_1) | instid1(VALU_DEP_1)
	v_add_f64 v[5:6], v[5:6], v[9:10]
	v_fma_f32 v9, v2, v2, -2.0
	v_fmaak_f32 v10, s0, v9, 0x293fd856
	s_delay_alu instid0(VALU_DEP_1) | instskip(SKIP_1) | instid1(VALU_DEP_2)
	v_fmaak_f32 v1, v9, v10, 0xa51e770f
	v_add_f64 v[7:8], v[7:8], -v[11:12]
	v_add_f32_e32 v11, 0x2d3612e2, v1
	s_delay_alu instid0(VALU_DEP_2) | instskip(NEXT) | instid1(VALU_DEP_2)
	v_add_f64 v[1:2], v[5:6], v[7:8]
	v_fma_f32 v5, v9, v11, -v10
	s_delay_alu instid0(VALU_DEP_1) | instskip(NEXT) | instid1(VALU_DEP_1)
	v_add_f32_e32 v5, 0x3102e09b, v5
	v_fma_f32 v6, v9, v5, -v11
	s_delay_alu instid0(VALU_DEP_1) | instskip(NEXT) | instid1(VALU_DEP_1)
	v_add_f32_e32 v6, 0x348815e7, v6
	;; [unrolled: 3-line block ×3, first 2 shown]
	v_fma_f32 v6, v9, v5, -v6
	v_add_f64 v[1:2], v[17:18], v[1:2]
	s_delay_alu instid0(VALU_DEP_1) | instskip(NEXT) | instid1(VALU_DEP_1)
	v_dual_add_f32 v6, 0x3aa5c174, v6 :: v_dual_cndmask_b32 v7, v1, v3
	v_fma_f32 v5, v9, v6, -v5
	s_delay_alu instid0(VALU_DEP_1) | instskip(NEXT) | instid1(VALU_DEP_1)
	v_add_f32_e32 v5, 0x3d135fb3, v5
	v_fma_f32 v6, v9, v5, -v6
	s_delay_alu instid0(VALU_DEP_1) | instskip(NEXT) | instid1(VALU_DEP_1)
	v_add_f32_e32 v6, 0x3eb046c4, v6
	;; [unrolled: 3-line block ×3, first 2 shown]
	v_sub_f32_e32 v5, v6, v5
	v_cndmask_b32_e32 v6, v2, v4, vcc_lo
	v_cmp_neq_f64_e32 vcc_lo, 0, v[3:4]
	v_cvt_f64_f32_e32 v[3:4], v0
	s_delay_alu instid0(VALU_DEP_3) | instskip(NEXT) | instid1(VALU_DEP_1)
	v_dual_cndmask_b32 v6, 0xfff00000, v6 :: v_dual_mul_f32 v5, 0.5, v5
	v_cvt_f64_f32_e32 v[1:2], v5
	v_cndmask_b32_e32 v5, 0, v7, vcc_lo
	s_delay_alu instid0(VALU_DEP_1) | instskip(NEXT) | instid1(VALU_DEP_1)
	v_fma_f64 v[0:1], -v[5:6], v[3:4], v[1:2]
                                        ; implicit-def: $vgpr2
	v_cvt_f32_f64_e32 v0, v[0:1]
.LBB20_59:
	s_and_not1_saveexec_b32 s4, s4
	s_cbranch_execz .LBB20_61
; %bb.60:
	v_div_scale_f32 v0, null, v2, v2, 0x41000000
	v_div_scale_f32 v4, vcc_lo, 0x41000000, v2, 0x41000000
	s_mov_b32 s0, 0x22c38d2e
	s_delay_alu instid0(VALU_DEP_2) | instskip(SKIP_2) | instid1(VALU_DEP_1)
	v_rcp_f32_e32 v1, v0
	s_waitcnt_depctr 0xfff
	v_fma_f32 v3, -v0, v1, 1.0
	v_fmac_f32_e32 v1, v3, v1
	s_delay_alu instid0(VALU_DEP_1) | instskip(NEXT) | instid1(VALU_DEP_1)
	v_mul_f32_e32 v3, v4, v1
	v_fma_f32 v5, -v0, v3, v4
	s_delay_alu instid0(VALU_DEP_1) | instskip(SKIP_1) | instid1(VALU_DEP_2)
	v_fmac_f32_e32 v3, v5, v1
	v_mul_f32_e32 v5, 0xbfb8aa3b, v2
	v_fma_f32 v0, -v0, v3, v4
	v_mul_f32_e32 v4, 0x4f800000, v2
	s_delay_alu instid0(VALU_DEP_3) | instskip(SKIP_1) | instid1(VALU_DEP_4)
	v_rndne_f32_e32 v6, v5
	v_fma_f32 v7, 0xbfb8aa3b, v2, -v5
	v_div_fmas_f32 v0, v0, v1, v3
	v_cmp_gt_f32_e32 vcc_lo, 0xf800000, v2
	s_delay_alu instid0(VALU_DEP_3) | instskip(NEXT) | instid1(VALU_DEP_3)
	v_fmamk_f32 v7, v2, 0xb2a5705f, v7
	v_div_fixup_f32 v0, v0, v2, 0x41000000
	v_cndmask_b32_e32 v4, v2, v4, vcc_lo
	s_delay_alu instid0(VALU_DEP_2) | instskip(NEXT) | instid1(VALU_DEP_2)
	v_add_f32_e32 v0, -2.0, v0
	v_sqrt_f32_e32 v8, v4
	s_delay_alu instid0(VALU_DEP_1) | instskip(NEXT) | instid1(VALU_DEP_1)
	v_fmaak_f32 v1, s0, v0, 0xa397f665
	v_fmaak_f32 v3, v0, v1, 0xa2c38d2e
	s_waitcnt_depctr 0xfff
	v_add_nc_u32_e32 v9, 1, v8
	v_add_f32_e32 v3, 0x24704972, v3
	s_delay_alu instid0(VALU_DEP_2) | instskip(NEXT) | instid1(VALU_DEP_2)
	v_fma_f32 v11, -v9, v8, v4
	v_fma_f32 v1, v0, v3, -v1
	s_delay_alu instid0(VALU_DEP_1) | instskip(NEXT) | instid1(VALU_DEP_1)
	v_add_f32_e32 v1, 0xa5417ca4, v1
	v_fma_f32 v3, v0, v1, -v3
	s_delay_alu instid0(VALU_DEP_1) | instskip(NEXT) | instid1(VALU_DEP_1)
	v_add_f32_e32 v3, 0x261edfcb, v3
	;; [unrolled: 3-line block ×21, first 2 shown]
	v_fma_f32 v0, v0, v1, -v3
	v_sub_f32_e32 v5, v5, v6
	v_cvt_i32_f32_e32 v6, v6
	s_delay_alu instid0(VALU_DEP_2) | instskip(NEXT) | instid1(VALU_DEP_1)
	v_dual_add_f32 v0, 0x401c2ded, v0 :: v_dual_add_f32 v5, v5, v7
	v_dual_sub_f32 v0, v0, v3 :: v_dual_add_nc_u32 v7, -1, v8
	s_delay_alu instid0(VALU_DEP_2) | instskip(NEXT) | instid1(VALU_DEP_1)
	v_exp_f32_e32 v5, v5
	v_fma_f32 v10, -v7, v8, v4
	s_delay_alu instid0(VALU_DEP_2) | instskip(NEXT) | instid1(VALU_DEP_2)
	v_mul_f32_e32 v0, 0.5, v0
	v_cmp_ge_f32_e64 s0, 0, v10
	s_waitcnt_depctr 0xfff
	v_ldexp_f32 v1, v5, v6
	v_cndmask_b32_e64 v7, v8, v7, s0
	v_cmp_lt_f32_e64 s0, 0, v11
	s_delay_alu instid0(VALU_DEP_1) | instskip(SKIP_1) | instid1(VALU_DEP_2)
	v_cndmask_b32_e64 v5, v7, v9, s0
	v_cmp_nlt_f32_e64 s0, 0x42ce8ed0, v2
	v_mul_f32_e32 v6, 0x37800000, v5
	s_delay_alu instid0(VALU_DEP_2) | instskip(SKIP_1) | instid1(VALU_DEP_3)
	v_cndmask_b32_e64 v1, 0, v1, s0
	v_cmp_ngt_f32_e64 s0, 0xc2b17218, v2
	v_cndmask_b32_e32 v2, v5, v6, vcc_lo
	v_cmp_class_f32_e64 vcc_lo, v4, 0x260
	s_delay_alu instid0(VALU_DEP_3) | instskip(NEXT) | instid1(VALU_DEP_3)
	v_cndmask_b32_e64 v1, 0x7f800000, v1, s0
	v_cndmask_b32_e32 v2, v2, v4, vcc_lo
	s_delay_alu instid0(VALU_DEP_2) | instskip(NEXT) | instid1(VALU_DEP_1)
	v_mul_f32_e32 v0, v1, v0
	v_div_scale_f32 v1, null, v2, v2, v0
	s_delay_alu instid0(VALU_DEP_1) | instskip(SKIP_2) | instid1(VALU_DEP_1)
	v_rcp_f32_e32 v3, v1
	s_waitcnt_depctr 0xfff
	v_fma_f32 v4, -v1, v3, 1.0
	v_fmac_f32_e32 v3, v4, v3
	v_div_scale_f32 v4, vcc_lo, v0, v2, v0
	s_delay_alu instid0(VALU_DEP_1) | instskip(NEXT) | instid1(VALU_DEP_1)
	v_mul_f32_e32 v5, v4, v3
	v_fma_f32 v6, -v1, v5, v4
	s_delay_alu instid0(VALU_DEP_1) | instskip(NEXT) | instid1(VALU_DEP_1)
	v_fmac_f32_e32 v5, v6, v3
	v_fma_f32 v1, -v1, v5, v4
	s_delay_alu instid0(VALU_DEP_1) | instskip(NEXT) | instid1(VALU_DEP_1)
	v_div_fmas_f32 v1, v1, v3, v5
	v_div_fixup_f32 v0, v1, v2, v0
.LBB20_61:
	s_or_b32 exec_lo, exec_lo, s4
.LBB20_62:
	s_delay_alu instid0(SALU_CYCLE_1)
	s_or_b32 exec_lo, exec_lo, s3
.LBB20_63:
	s_delay_alu instid0(SALU_CYCLE_1) | instskip(NEXT) | instid1(SALU_CYCLE_1)
	s_or_b32 exec_lo, exec_lo, s2
	s_or_b32 exec_lo, exec_lo, s1
	s_setpc_b64 s[30:31]
.LBB20_64:
	s_mov_b32 s5, 0
	s_mov_b32 s2, exec_lo
                                        ; implicit-def: $vgpr2
	v_cmpx_lt_i16_e32 28, v3
	s_xor_b32 s2, exec_lo, s2
	s_cbranch_execz .LBB20_80
; %bb.65:
	s_mov_b32 s6, 0
	s_mov_b32 s7, 0
	s_mov_b32 s4, exec_lo
                                        ; implicit-def: $vgpr2
	v_cmpx_lt_i16_e32 43, v3
	s_xor_b32 s4, exec_lo, s4
	s_cbranch_execz .LBB20_75
; %bb.66:
	s_mov_b32 s7, exec_lo
                                        ; implicit-def: $vgpr2
	v_cmpx_lt_i16_e32 45, v3
	s_xor_b32 s7, exec_lo, s7
	s_cbranch_execz .LBB20_70
; %bb.67:
	s_mov_b32 s8, -1
	s_mov_b32 s6, exec_lo
                                        ; implicit-def: $vgpr2
	v_cmpx_eq_u16_e32 46, v3
	s_cbranch_execz .LBB20_69
; %bb.68:
	flat_load_b32 v2, v[0:1]
	s_mov_b32 s5, exec_lo
	s_xor_b32 s8, exec_lo, -1
	s_waitcnt vmcnt(0) lgkmcnt(0)
	v_lshlrev_b32_e32 v2, 16, v2
.LBB20_69:
	s_or_b32 exec_lo, exec_lo, s6
	s_delay_alu instid0(SALU_CYCLE_1)
	s_and_b32 s6, s5, exec_lo
	s_and_b32 s5, s8, exec_lo
                                        ; implicit-def: $vgpr3
.LBB20_70:
	s_and_not1_saveexec_b32 s7, s7
	s_cbranch_execz .LBB20_74
; %bb.71:
	s_mov_b32 s8, -1
	s_mov_b32 s10, s6
	s_mov_b32 s9, exec_lo
                                        ; implicit-def: $vgpr2
	v_cmpx_eq_u16_e32 44, v3
	s_cbranch_execz .LBB20_73
; %bb.72:
	flat_load_u8 v2, v[0:1]
	s_or_b32 s10, s6, exec_lo
	s_xor_b32 s8, exec_lo, -1
	s_waitcnt vmcnt(0) lgkmcnt(0)
	v_lshlrev_b32_e32 v3, 23, v2
	v_cmp_ne_u32_e32 vcc_lo, 0xff, v2
	s_delay_alu instid0(VALU_DEP_2) | instskip(SKIP_1) | instid1(VALU_DEP_2)
	v_cndmask_b32_e32 v3, 0x7f800001, v3, vcc_lo
	v_cmp_ne_u32_e32 vcc_lo, 0, v2
	v_cndmask_b32_e32 v2, 0x400000, v3, vcc_lo
.LBB20_73:
	s_or_b32 exec_lo, exec_lo, s9
	s_delay_alu instid0(SALU_CYCLE_1)
	s_and_not1_b32 s6, s6, exec_lo
	s_and_b32 s9, s10, exec_lo
	s_and_not1_b32 s5, s5, exec_lo
	s_and_b32 s8, s8, exec_lo
	s_or_b32 s6, s6, s9
	s_or_b32 s5, s5, s8
.LBB20_74:
	s_or_b32 exec_lo, exec_lo, s7
	s_delay_alu instid0(SALU_CYCLE_1)
	s_and_b32 s7, s6, exec_lo
	s_and_b32 s6, s5, exec_lo
                                        ; implicit-def: $vgpr3
.LBB20_75:
	s_and_not1_saveexec_b32 s4, s4
	s_cbranch_execz .LBB20_79
; %bb.76:
	s_mov_b32 s5, -1
	s_mov_b32 s9, s7
	s_mov_b32 s8, exec_lo
                                        ; implicit-def: $vgpr2
	v_cmpx_eq_u16_e32 29, v3
	s_cbranch_execz .LBB20_78
; %bb.77:
	flat_load_b64 v[2:3], v[0:1]
	s_or_b32 s9, s7, exec_lo
	s_xor_b32 s5, exec_lo, -1
	s_waitcnt vmcnt(0) lgkmcnt(0)
	v_clz_i32_u32_e32 v4, v3
	s_delay_alu instid0(VALU_DEP_1) | instskip(NEXT) | instid1(VALU_DEP_1)
	v_min_u32_e32 v4, 32, v4
	v_lshlrev_b64 v[2:3], v4, v[2:3]
	s_delay_alu instid0(VALU_DEP_1) | instskip(NEXT) | instid1(VALU_DEP_1)
	v_min_u32_e32 v2, 1, v2
	v_or_b32_e32 v2, v3, v2
	v_sub_nc_u32_e32 v3, 32, v4
	s_delay_alu instid0(VALU_DEP_2) | instskip(NEXT) | instid1(VALU_DEP_1)
	v_cvt_f32_u32_e32 v2, v2
	v_ldexp_f32 v2, v2, v3
.LBB20_78:
	s_or_b32 exec_lo, exec_lo, s8
	s_delay_alu instid0(SALU_CYCLE_1)
	s_and_not1_b32 s7, s7, exec_lo
	s_and_b32 s8, s9, exec_lo
	s_and_not1_b32 s6, s6, exec_lo
	s_and_b32 s5, s5, exec_lo
	s_or_b32 s7, s7, s8
	s_or_b32 s6, s6, s5
.LBB20_79:
	s_or_b32 exec_lo, exec_lo, s4
	s_delay_alu instid0(SALU_CYCLE_1)
	s_and_b32 s5, s7, exec_lo
	s_and_b32 s4, s6, exec_lo
                                        ; implicit-def: $vgpr3
.LBB20_80:
	s_and_not1_saveexec_b32 s2, s2
	s_cbranch_execz .LBB20_94
; %bb.81:
	s_mov_b32 s6, exec_lo
                                        ; implicit-def: $vgpr2
	v_cmpx_lt_i16_e32 26, v3
	s_xor_b32 s6, exec_lo, s6
	s_cbranch_execz .LBB20_87
; %bb.82:
	s_mov_b32 s7, exec_lo
                                        ; implicit-def: $vgpr2
	v_cmpx_lt_i16_e32 27, v3
	s_xor_b32 s7, exec_lo, s7
	s_cbranch_execz .LBB20_84
; %bb.83:
	flat_load_b32 v2, v[0:1]
	s_waitcnt vmcnt(0) lgkmcnt(0)
	v_cvt_f32_u32_e32 v2, v2
.LBB20_84:
	s_and_not1_saveexec_b32 s7, s7
	s_cbranch_execz .LBB20_86
; %bb.85:
	flat_load_u16 v2, v[0:1]
	s_waitcnt vmcnt(0) lgkmcnt(0)
	v_cvt_f32_u32_e32 v2, v2
.LBB20_86:
	s_or_b32 exec_lo, exec_lo, s7
.LBB20_87:
	s_and_not1_saveexec_b32 s6, s6
	s_cbranch_execz .LBB20_93
; %bb.88:
	flat_load_u8 v3, v[0:1]
	s_mov_b32 s7, 0
	s_mov_b32 s9, exec_lo
                                        ; implicit-def: $sgpr8
	s_waitcnt vmcnt(0) lgkmcnt(0)
	v_cmpx_lt_i16_e32 0x7f, v3
	s_xor_b32 s9, exec_lo, s9
	s_cbranch_execnz .LBB20_120
; %bb.89:
	s_or_saveexec_b32 s9, s9
	v_mov_b32_e32 v2, s8
	s_xor_b32 exec_lo, exec_lo, s9
	s_cbranch_execnz .LBB20_123
.LBB20_90:
	s_or_b32 exec_lo, exec_lo, s9
	s_and_saveexec_b32 s8, s7
	s_cbranch_execz .LBB20_92
.LBB20_91:
	v_and_b32_e32 v2, 0xffff, v3
	s_delay_alu instid0(VALU_DEP_1) | instskip(NEXT) | instid1(VALU_DEP_1)
	v_and_b32_e32 v4, 7, v2
	v_clz_i32_u32_e32 v5, v4
	s_delay_alu instid0(VALU_DEP_1) | instskip(NEXT) | instid1(VALU_DEP_1)
	v_min_u32_e32 v5, 32, v5
	v_subrev_nc_u32_e32 v6, 28, v5
	v_sub_nc_u32_e32 v5, 29, v5
	s_delay_alu instid0(VALU_DEP_2) | instskip(SKIP_1) | instid1(VALU_DEP_2)
	v_lshlrev_b32_e32 v6, v6, v2
	v_bfe_u32 v2, v2, 3, 4
	v_and_b32_e32 v6, 7, v6
	s_delay_alu instid0(VALU_DEP_2) | instskip(SKIP_1) | instid1(VALU_DEP_1)
	v_cmp_eq_u32_e32 vcc_lo, 0, v2
	v_dual_cndmask_b32 v2, v2, v5 :: v_dual_lshlrev_b32 v3, 24, v3
	v_dual_cndmask_b32 v4, v4, v6 :: v_dual_and_b32 v3, 0x80000000, v3
	s_delay_alu instid0(VALU_DEP_2) | instskip(NEXT) | instid1(VALU_DEP_2)
	v_lshl_add_u32 v2, v2, 23, 0x3b800000
	v_lshlrev_b32_e32 v4, 20, v4
	s_delay_alu instid0(VALU_DEP_1)
	v_or3_b32 v2, v3, v2, v4
.LBB20_92:
	s_or_b32 exec_lo, exec_lo, s8
.LBB20_93:
	s_delay_alu instid0(SALU_CYCLE_1) | instskip(NEXT) | instid1(SALU_CYCLE_1)
	s_or_b32 exec_lo, exec_lo, s6
	s_or_b32 s5, s5, exec_lo
.LBB20_94:
	s_or_b32 exec_lo, exec_lo, s2
	s_delay_alu instid0(SALU_CYCLE_1)
	s_and_b32 s2, s5, exec_lo
	s_and_b32 s4, s4, exec_lo
                                        ; implicit-def: $vgpr3
	s_and_not1_saveexec_b32 s3, s3
	s_cbranch_execz .LBB20_3
.LBB20_95:
	s_mov_b32 s5, s2
	s_mov_b32 s1, exec_lo
                                        ; implicit-def: $vgpr2
	v_cmpx_lt_i16_e32 22, v3
	s_xor_b32 s1, exec_lo, s1
	s_cbranch_execz .LBB20_109
; %bb.96:
	s_mov_b32 s5, exec_lo
                                        ; implicit-def: $vgpr2
	v_cmpx_lt_i16_e32 23, v3
	s_xor_b32 s5, exec_lo, s5
	s_cbranch_execz .LBB20_106
; %bb.97:
	;; [unrolled: 6-line block ×3, first 2 shown]
	flat_load_u8 v3, v[0:1]
	s_mov_b32 s7, 0
	s_mov_b32 s9, exec_lo
                                        ; implicit-def: $sgpr8
	s_waitcnt vmcnt(0) lgkmcnt(0)
	v_cmpx_lt_i16_e32 0x7f, v3
	s_xor_b32 s9, exec_lo, s9
	s_cbranch_execnz .LBB20_124
; %bb.99:
	s_or_saveexec_b32 s9, s9
	v_mov_b32_e32 v2, s8
	s_xor_b32 exec_lo, exec_lo, s9
	s_cbranch_execnz .LBB20_127
.LBB20_100:
	s_or_b32 exec_lo, exec_lo, s9
	s_and_saveexec_b32 s8, s7
	s_cbranch_execz .LBB20_102
.LBB20_101:
	v_and_b32_e32 v2, 0xffff, v3
	s_delay_alu instid0(VALU_DEP_1) | instskip(NEXT) | instid1(VALU_DEP_1)
	v_and_b32_e32 v4, 3, v2
	v_clz_i32_u32_e32 v5, v4
	s_delay_alu instid0(VALU_DEP_1) | instskip(NEXT) | instid1(VALU_DEP_1)
	v_min_u32_e32 v5, 32, v5
	v_subrev_nc_u32_e32 v6, 29, v5
	v_sub_nc_u32_e32 v5, 30, v5
	s_delay_alu instid0(VALU_DEP_2) | instskip(SKIP_1) | instid1(VALU_DEP_2)
	v_lshlrev_b32_e32 v6, v6, v2
	v_bfe_u32 v2, v2, 2, 5
	v_and_b32_e32 v6, 3, v6
	s_delay_alu instid0(VALU_DEP_2) | instskip(SKIP_1) | instid1(VALU_DEP_1)
	v_cmp_eq_u32_e32 vcc_lo, 0, v2
	v_dual_cndmask_b32 v2, v2, v5 :: v_dual_lshlrev_b32 v3, 24, v3
	v_dual_cndmask_b32 v4, v4, v6 :: v_dual_and_b32 v3, 0x80000000, v3
	s_delay_alu instid0(VALU_DEP_2) | instskip(NEXT) | instid1(VALU_DEP_2)
	v_lshl_add_u32 v2, v2, 23, 0x37800000
	v_lshlrev_b32_e32 v4, 21, v4
	s_delay_alu instid0(VALU_DEP_1)
	v_or3_b32 v2, v3, v2, v4
.LBB20_102:
	s_or_b32 exec_lo, exec_lo, s8
.LBB20_103:
	s_and_not1_saveexec_b32 s6, s6
	s_cbranch_execz .LBB20_105
; %bb.104:
	flat_load_u8 v2, v[0:1]
	s_waitcnt vmcnt(0) lgkmcnt(0)
	v_lshlrev_b32_e32 v2, 24, v2
	s_delay_alu instid0(VALU_DEP_1) | instskip(NEXT) | instid1(VALU_DEP_1)
	v_and_b32_e32 v3, 0x7f000000, v2
	v_clz_i32_u32_e32 v4, v3
	v_add_nc_u32_e32 v6, 0x1000000, v3
	v_cmp_ne_u32_e32 vcc_lo, 0, v3
	s_delay_alu instid0(VALU_DEP_3) | instskip(NEXT) | instid1(VALU_DEP_1)
	v_min_u32_e32 v4, 32, v4
	v_sub_nc_u32_e64 v4, v4, 4 clamp
	s_delay_alu instid0(VALU_DEP_1) | instskip(SKIP_1) | instid1(VALU_DEP_2)
	v_lshlrev_b32_e32 v5, v4, v3
	v_lshlrev_b32_e32 v4, 23, v4
	v_lshrrev_b32_e32 v5, 4, v5
	s_delay_alu instid0(VALU_DEP_1) | instskip(SKIP_1) | instid1(VALU_DEP_2)
	v_sub_nc_u32_e32 v4, v5, v4
	v_ashrrev_i32_e32 v5, 8, v6
	v_add_nc_u32_e32 v4, 0x3c000000, v4
	s_delay_alu instid0(VALU_DEP_1) | instskip(NEXT) | instid1(VALU_DEP_1)
	v_and_or_b32 v4, 0x7f800000, v5, v4
	v_cndmask_b32_e32 v3, 0, v4, vcc_lo
	s_delay_alu instid0(VALU_DEP_1)
	v_and_or_b32 v2, 0x80000000, v2, v3
.LBB20_105:
	s_or_b32 exec_lo, exec_lo, s6
.LBB20_106:
	s_and_not1_saveexec_b32 s5, s5
	s_cbranch_execz .LBB20_108
; %bb.107:
	flat_load_u8 v2, v[0:1]
	s_waitcnt vmcnt(0) lgkmcnt(0)
	v_lshlrev_b32_e32 v3, 25, v2
	v_lshlrev_b16 v2, 8, v2
	s_delay_alu instid0(VALU_DEP_2) | instskip(NEXT) | instid1(VALU_DEP_2)
	v_lshrrev_b32_e32 v4, 4, v3
	v_and_or_b32 v5, 0x7f00, v2, 0.5
	v_bfe_i32 v2, v2, 0, 16
	s_delay_alu instid0(VALU_DEP_3) | instskip(NEXT) | instid1(VALU_DEP_1)
	v_or_b32_e32 v4, 0x70000000, v4
	v_dual_add_f32 v5, -0.5, v5 :: v_dual_mul_f32 v4, 0x7800000, v4
	v_cmp_gt_u32_e32 vcc_lo, 0x8000000, v3
	s_delay_alu instid0(VALU_DEP_2) | instskip(NEXT) | instid1(VALU_DEP_1)
	v_cndmask_b32_e32 v3, v4, v5, vcc_lo
	v_and_or_b32 v2, 0x80000000, v2, v3
.LBB20_108:
	s_or_b32 exec_lo, exec_lo, s5
	s_delay_alu instid0(SALU_CYCLE_1)
	s_or_b32 s5, s2, exec_lo
                                        ; implicit-def: $vgpr3
.LBB20_109:
	s_or_saveexec_b32 s1, s1
	s_mov_b32 s6, 0
	s_mov_b32 s7, s4
	s_xor_b32 exec_lo, exec_lo, s1
	s_cbranch_execz .LBB20_117
; %bb.110:
	s_mov_b32 s6, s4
	s_mov_b32 s7, s5
	s_mov_b32 s8, exec_lo
                                        ; implicit-def: $vgpr2
	v_cmpx_lt_i16_e32 14, v3
	s_xor_b32 s8, exec_lo, s8
	s_cbranch_execz .LBB20_114
; %bb.111:
	s_mov_b32 s6, -1
	s_mov_b32 s7, s5
	s_mov_b32 s9, exec_lo
                                        ; implicit-def: $vgpr2
	v_cmpx_eq_u16_e32 15, v3
	s_cbranch_execz .LBB20_113
; %bb.112:
	flat_load_u16 v2, v[0:1]
	s_or_b32 s7, s5, exec_lo
	s_xor_b32 s6, exec_lo, -1
	s_waitcnt vmcnt(0) lgkmcnt(0)
	v_lshlrev_b32_e32 v2, 16, v2
.LBB20_113:
	s_or_b32 exec_lo, exec_lo, s9
	s_delay_alu instid0(SALU_CYCLE_1)
	s_and_not1_b32 s9, s5, exec_lo
	s_and_b32 s7, s7, exec_lo
	s_and_not1_b32 s10, s4, exec_lo
	s_and_b32 s6, s6, exec_lo
	s_or_b32 s7, s9, s7
	s_or_b32 s6, s10, s6
                                        ; implicit-def: $vgpr3
.LBB20_114:
	s_or_saveexec_b32 s8, s8
	s_mov_b32 s9, 0
	s_xor_b32 exec_lo, exec_lo, s8
; %bb.115:
	v_cmp_ne_u16_e32 vcc_lo, 11, v3
	s_and_not1_b32 s6, s6, exec_lo
	s_mov_b32 s9, exec_lo
                                        ; implicit-def: $vgpr2
	s_and_b32 s10, vcc_lo, exec_lo
	s_delay_alu instid0(SALU_CYCLE_1)
	s_or_b32 s6, s6, s10
; %bb.116:
	s_or_b32 exec_lo, exec_lo, s8
	s_delay_alu instid0(SALU_CYCLE_1)
	s_and_not1_b32 s5, s5, exec_lo
	s_and_b32 s7, s7, exec_lo
	s_and_b32 s8, s6, exec_lo
	s_or_b32 s5, s5, s7
	s_and_not1_b32 s7, s4, exec_lo
	s_and_b32 s6, s9, exec_lo
	s_or_b32 s7, s7, s8
.LBB20_117:
	s_or_b32 exec_lo, exec_lo, s1
	s_delay_alu instid0(SALU_CYCLE_1)
	s_and_not1_b32 s1, s2, exec_lo
	s_and_b32 s2, s5, exec_lo
	s_and_not1_b32 s4, s4, exec_lo
	s_and_b32 s5, s7, exec_lo
	s_or_b32 s2, s1, s2
	s_and_b32 s1, s6, exec_lo
	s_or_b32 s4, s4, s5
	s_or_b32 exec_lo, exec_lo, s3
	s_and_saveexec_b32 s3, s4
	s_cbranch_execz .LBB20_4
.LBB20_118:
	s_cbranch_execnz .LBB20_128
; %bb.119:
	; divergent unreachable
	s_and_not1_b32 s1, s1, exec_lo
                                        ; implicit-def: $vgpr2
	s_or_b32 exec_lo, exec_lo, s3
	s_and_saveexec_b32 s3, s1
	s_delay_alu instid0(SALU_CYCLE_1)
	s_xor_b32 s1, exec_lo, s3
	s_cbranch_execnz .LBB20_5
	s_branch .LBB20_6
.LBB20_120:
	s_mov_b32 s7, -1
	s_mov_b32 s10, exec_lo
                                        ; implicit-def: $sgpr8
	v_cmpx_eq_u16_e32 0x80, v3
; %bb.121:
	s_mov_b32 s8, 0x7f800001
	s_xor_b32 s7, exec_lo, -1
; %bb.122:
	s_or_b32 exec_lo, exec_lo, s10
	s_delay_alu instid0(SALU_CYCLE_1)
	s_and_b32 s7, s7, exec_lo
	s_or_saveexec_b32 s9, s9
	v_mov_b32_e32 v2, s8
	s_xor_b32 exec_lo, exec_lo, s9
	s_cbranch_execz .LBB20_90
.LBB20_123:
	v_cmp_ne_u16_e32 vcc_lo, 0, v3
	v_mov_b32_e32 v2, 0
	s_and_not1_b32 s7, s7, exec_lo
	s_and_b32 s8, vcc_lo, exec_lo
	s_delay_alu instid0(SALU_CYCLE_1)
	s_or_b32 s7, s7, s8
	s_or_b32 exec_lo, exec_lo, s9
	s_and_saveexec_b32 s8, s7
	s_cbranch_execnz .LBB20_91
	s_branch .LBB20_92
.LBB20_124:
	s_mov_b32 s7, -1
	s_mov_b32 s10, exec_lo
                                        ; implicit-def: $sgpr8
	v_cmpx_eq_u16_e32 0x80, v3
; %bb.125:
	s_mov_b32 s8, 0x7f800001
	s_xor_b32 s7, exec_lo, -1
; %bb.126:
	s_or_b32 exec_lo, exec_lo, s10
	s_delay_alu instid0(SALU_CYCLE_1)
	s_and_b32 s7, s7, exec_lo
	s_or_saveexec_b32 s9, s9
	v_mov_b32_e32 v2, s8
	s_xor_b32 exec_lo, exec_lo, s9
	s_cbranch_execz .LBB20_100
.LBB20_127:
	v_cmp_ne_u16_e32 vcc_lo, 0, v3
	v_mov_b32_e32 v2, 0
	s_and_not1_b32 s7, s7, exec_lo
	s_and_b32 s8, vcc_lo, exec_lo
	s_delay_alu instid0(SALU_CYCLE_1)
	s_or_b32 s7, s7, s8
	s_or_b32 exec_lo, exec_lo, s9
	s_and_saveexec_b32 s8, s7
	s_cbranch_execnz .LBB20_101
	s_branch .LBB20_102
.LBB20_128:
	s_trap 2
	s_sendmsg_rtn_b32 s0, sendmsg(MSG_RTN_GET_DOORBELL)
	s_mov_b32 ttmp2, m0
	s_waitcnt lgkmcnt(0)
	s_and_b32 s0, s0, 0x3ff
	s_delay_alu instid0(SALU_CYCLE_1) | instskip(NEXT) | instid1(SALU_CYCLE_1)
	s_bitset1_b32 s0, 10
	s_mov_b32 m0, s0
	s_sendmsg sendmsg(MSG_INTERRUPT)
	s_mov_b32 m0, ttmp2
.LBB20_129:                             ; =>This Inner Loop Header: Depth=1
	s_sethalt 5
	s_branch .LBB20_129
.Lfunc_end20:
	.size	_ZN2at6native6invokeIZZZNS0_12_GLOBAL__N_130modified_bessel_k0_kernel_cudaERNS_18TensorIteratorBaseEENKUlvE_clEvENKUlvE0_clEvEUlfE_i15function_traitsIS7_EEENT1_11result_typeERKT_PrKPcPKT0_PKN3c1010ScalarTypeEi, .Lfunc_end20-_ZN2at6native6invokeIZZZNS0_12_GLOBAL__N_130modified_bessel_k0_kernel_cudaERNS_18TensorIteratorBaseEENKUlvE_clEvENKUlvE0_clEvEUlfE_i15function_traitsIS7_EEENT1_11result_typeERKT_PrKPcPKT0_PKN3c1010ScalarTypeEi
                                        ; -- End function
	.section	.AMDGPU.csdata,"",@progbits
; Function info:
; codeLenInByte = 6304
; NumSgprs: 34
; NumVgprs: 23
; ScratchSize: 0
; MemoryBound: 1
	.section	.text._ZN2at6native32elementwise_kernel_manual_unrollILi128ELi4EZNS0_15gpu_kernel_implIZZZNS0_12_GLOBAL__N_130modified_bessel_k0_kernel_cudaERNS_18TensorIteratorBaseEENKUlvE_clEvENKUlvE0_clEvEUlfE_EEvS5_RKT_EUlibE_EEviT1_,"axG",@progbits,_ZN2at6native32elementwise_kernel_manual_unrollILi128ELi4EZNS0_15gpu_kernel_implIZZZNS0_12_GLOBAL__N_130modified_bessel_k0_kernel_cudaERNS_18TensorIteratorBaseEENKUlvE_clEvENKUlvE0_clEvEUlfE_EEvS5_RKT_EUlibE_EEviT1_,comdat
	.globl	_ZN2at6native32elementwise_kernel_manual_unrollILi128ELi4EZNS0_15gpu_kernel_implIZZZNS0_12_GLOBAL__N_130modified_bessel_k0_kernel_cudaERNS_18TensorIteratorBaseEENKUlvE_clEvENKUlvE0_clEvEUlfE_EEvS5_RKT_EUlibE_EEviT1_ ; -- Begin function _ZN2at6native32elementwise_kernel_manual_unrollILi128ELi4EZNS0_15gpu_kernel_implIZZZNS0_12_GLOBAL__N_130modified_bessel_k0_kernel_cudaERNS_18TensorIteratorBaseEENKUlvE_clEvENKUlvE0_clEvEUlfE_EEvS5_RKT_EUlibE_EEviT1_
	.p2align	8
	.type	_ZN2at6native32elementwise_kernel_manual_unrollILi128ELi4EZNS0_15gpu_kernel_implIZZZNS0_12_GLOBAL__N_130modified_bessel_k0_kernel_cudaERNS_18TensorIteratorBaseEENKUlvE_clEvENKUlvE0_clEvEUlfE_EEvS5_RKT_EUlibE_EEviT1_,@function
_ZN2at6native32elementwise_kernel_manual_unrollILi128ELi4EZNS0_15gpu_kernel_implIZZZNS0_12_GLOBAL__N_130modified_bessel_k0_kernel_cudaERNS_18TensorIteratorBaseEENKUlvE_clEvENKUlvE0_clEvEUlfE_EEvS5_RKT_EUlibE_EEviT1_: ; @_ZN2at6native32elementwise_kernel_manual_unrollILi128ELi4EZNS0_15gpu_kernel_implIZZZNS0_12_GLOBAL__N_130modified_bessel_k0_kernel_cudaERNS_18TensorIteratorBaseEENKUlvE_clEvENKUlvE0_clEvEUlfE_EEvS5_RKT_EUlibE_EEviT1_
; %bb.0:
	v_mov_b32_e32 v1, 0
	s_clause 0x2
	s_load_b32 s21, s[0:1], 0x0
	s_load_b64 s[12:13], s[0:1], 0x18
	s_load_b128 s[16:19], s[0:1], 0x8
	v_lshl_or_b32 v26, s15, 9, v0
	s_mov_b32 s14, 0
	s_mov_b32 s20, 0
	global_load_u16 v30, v1, s[0:1] offset:33
	s_mov_b32 s32, 0
	v_or_b32_e32 v28, 0x180, v26
	s_mov_b32 s0, exec_lo
	s_waitcnt vmcnt(0)
	v_lshrrev_b16 v27, 8, v30
	s_waitcnt lgkmcnt(0)
	v_cmpx_le_i32_e64 s21, v28
	s_xor_b32 s15, exec_lo, s0
	s_cbranch_execz .LBB21_175
; %bb.1:
	s_mov_b32 s0, -1
	s_mov_b32 s23, 0
	s_mov_b32 s22, exec_lo
	v_cmpx_gt_i32_e64 s21, v26
	s_cbranch_execz .LBB21_124
; %bb.2:
	v_dual_mov_b32 v0, s18 :: v_dual_mov_b32 v1, s19
	v_dual_mov_b32 v2, s13 :: v_dual_mov_b32 v3, v27
	v_mov_b32_e32 v4, v26
	s_getpc_b64 s[0:1]
	s_add_u32 s0, s0, _ZN2at6native6invokeIZZZNS0_12_GLOBAL__N_130modified_bessel_k0_kernel_cudaERNS_18TensorIteratorBaseEENKUlvE_clEvENKUlvE0_clEvEUlfE_i15function_traitsIS7_EEENT1_11result_typeERKT_PrKPcPKT0_PKN3c1010ScalarTypeEi@rel32@lo+4
	s_addc_u32 s1, s1, _ZN2at6native6invokeIZZZNS0_12_GLOBAL__N_130modified_bessel_k0_kernel_cudaERNS_18TensorIteratorBaseEENKUlvE_clEvENKUlvE0_clEvEUlfE_i15function_traitsIS7_EEENT1_11result_typeERKT_PrKPcPKT0_PKN3c1010ScalarTypeEi@rel32@hi+12
	s_delay_alu instid0(SALU_CYCLE_1) | instskip(SKIP_2) | instid1(VALU_DEP_1)
	s_swappc_b64 s[30:31], s[0:1]
	v_mul_lo_u32 v1, v26, s12
	v_and_b32_e32 v4, 0xff, v30
	v_cmp_gt_i16_e32 vcc_lo, 11, v4
	s_delay_alu instid0(VALU_DEP_3) | instskip(SKIP_1) | instid1(VALU_DEP_1)
	v_ashrrev_i32_e32 v3, 31, v1
	v_add_co_u32 v2, s0, s16, v1
	v_add_co_ci_u32_e64 v3, s0, s17, v3, s0
	s_cbranch_vccnz .LBB21_9
; %bb.3:
	v_cmp_lt_i16_e32 vcc_lo, 25, v4
	s_cbranch_vccz .LBB21_12
; %bb.4:
	v_cmp_lt_i16_e32 vcc_lo, 28, v4
	s_cbranch_vccz .LBB21_13
	;; [unrolled: 3-line block ×4, first 2 shown]
; %bb.7:
	v_cmp_eq_u16_e32 vcc_lo, 46, v4
	s_mov_b32 s2, 0
	s_mov_b32 s0, -1
	s_mov_b32 s1, 0
	s_cbranch_vccz .LBB21_16
; %bb.8:
	v_bfe_u32 v1, v0, 16, 1
	v_cmp_o_f32_e32 vcc_lo, v0, v0
	s_mov_b32 s1, -1
	s_mov_b32 s0, 0
	s_delay_alu instid0(VALU_DEP_2) | instskip(NEXT) | instid1(VALU_DEP_1)
	v_add3_u32 v1, v0, v1, 0x7fff
	v_lshrrev_b32_e32 v1, 16, v1
	s_delay_alu instid0(VALU_DEP_1)
	v_cndmask_b32_e32 v1, 0x7fc0, v1, vcc_lo
	global_store_b32 v[2:3], v1, off
	s_branch .LBB21_16
.LBB21_9:
	s_mov_b32 s0, 0
	s_mov_b32 s1, 0
	s_cbranch_execnz .LBB21_84
.LBB21_10:
	s_and_not1_b32 vcc_lo, exec_lo, s1
	s_cbranch_vccnz .LBB21_122
.LBB21_11:
	v_add_nc_u32_e32 v26, 0x80, v26
	s_mov_b32 s1, -1
	s_branch .LBB21_123
.LBB21_12:
	s_mov_b32 s0, 0
	s_mov_b32 s1, 0
	s_cbranch_execnz .LBB21_43
	s_branch .LBB21_83
.LBB21_13:
	s_mov_b32 s2, -1
	s_mov_b32 s0, 0
	s_mov_b32 s1, 0
	s_branch .LBB21_26
.LBB21_14:
	s_mov_b32 s2, -1
	s_mov_b32 s0, 0
	s_mov_b32 s1, 0
	s_branch .LBB21_22
.LBB21_15:
	s_mov_b32 s2, -1
	s_mov_b32 s0, 0
	s_mov_b32 s1, 0
.LBB21_16:
	s_and_b32 vcc_lo, exec_lo, s2
	s_cbranch_vccz .LBB21_21
; %bb.17:
	v_cmp_eq_u16_e32 vcc_lo, 44, v4
	s_mov_b32 s0, -1
	s_cbranch_vccz .LBB21_21
; %bb.18:
	v_bfe_u32 v5, v0, 23, 8
	v_mov_b32_e32 v1, 0xff
	s_mov_b32 s1, exec_lo
	s_delay_alu instid0(VALU_DEP_2)
	v_cmpx_ne_u32_e32 0xff, v5
; %bb.19:
	v_and_b32_e32 v1, 0x400000, v0
	v_and_or_b32 v5, 0x3fffff, v0, v5
	s_delay_alu instid0(VALU_DEP_2) | instskip(NEXT) | instid1(VALU_DEP_2)
	v_cmp_ne_u32_e32 vcc_lo, 0, v1
	v_cmp_ne_u32_e64 s0, 0, v5
	v_lshrrev_b32_e32 v1, 23, v0
	s_delay_alu instid0(VALU_DEP_2) | instskip(NEXT) | instid1(SALU_CYCLE_1)
	s_and_b32 s0, vcc_lo, s0
	v_cndmask_b32_e64 v5, 0, 1, s0
	s_delay_alu instid0(VALU_DEP_1)
	v_add_nc_u32_e32 v1, v1, v5
; %bb.20:
	s_or_b32 exec_lo, exec_lo, s1
	s_mov_b32 s1, -1
	s_mov_b32 s0, 0
	global_store_b8 v[2:3], v1, off
.LBB21_21:
	s_mov_b32 s2, 0
.LBB21_22:
	s_delay_alu instid0(SALU_CYCLE_1)
	s_and_b32 vcc_lo, exec_lo, s2
	s_cbranch_vccz .LBB21_25
; %bb.23:
	v_cmp_eq_u16_e32 vcc_lo, 29, v4
	s_mov_b32 s0, -1
	s_cbranch_vccz .LBB21_25
; %bb.24:
	v_trunc_f32_e32 v1, v0
	s_mov_b32 s1, -1
	s_mov_b32 s0, 0
	s_mov_b32 s2, 0
	s_delay_alu instid0(VALU_DEP_1) | instskip(NEXT) | instid1(VALU_DEP_1)
	v_mul_f32_e32 v5, 0x2f800000, v1
	v_floor_f32_e32 v5, v5
	s_delay_alu instid0(VALU_DEP_1) | instskip(SKIP_1) | instid1(VALU_DEP_2)
	v_fmamk_f32 v1, v5, 0xcf800000, v1
	v_cvt_u32_f32_e32 v6, v5
	v_cvt_u32_f32_e32 v5, v1
	global_store_b64 v[2:3], v[5:6], off
	s_branch .LBB21_26
.LBB21_25:
	s_mov_b32 s2, 0
.LBB21_26:
	s_delay_alu instid0(SALU_CYCLE_1)
	s_and_b32 vcc_lo, exec_lo, s2
	s_cbranch_vccz .LBB21_42
; %bb.27:
	v_cmp_gt_i16_e32 vcc_lo, 27, v4
	s_mov_b32 s1, -1
	s_cbranch_vccnz .LBB21_33
; %bb.28:
	v_cmp_lt_i16_e32 vcc_lo, 27, v4
	v_cvt_u32_f32_e32 v1, v0
	s_cbranch_vccz .LBB21_30
; %bb.29:
	s_mov_b32 s1, 0
	global_store_b32 v[2:3], v1, off
.LBB21_30:
	s_and_not1_b32 vcc_lo, exec_lo, s1
	s_cbranch_vccnz .LBB21_32
; %bb.31:
	global_store_b16 v[2:3], v1, off
.LBB21_32:
	s_mov_b32 s1, 0
.LBB21_33:
	s_delay_alu instid0(SALU_CYCLE_1)
	s_and_not1_b32 vcc_lo, exec_lo, s1
	s_cbranch_vccnz .LBB21_41
; %bb.34:
	v_and_b32_e32 v1, 0x7fffffff, v0
	v_mov_b32_e32 v5, 0x80
	s_mov_b32 s1, exec_lo
	s_delay_alu instid0(VALU_DEP_2)
	v_cmpx_gt_u32_e32 0x43800000, v1
	s_cbranch_execz .LBB21_40
; %bb.35:
	v_cmp_lt_u32_e32 vcc_lo, 0x3bffffff, v1
	s_mov_b32 s2, 0
                                        ; implicit-def: $vgpr1
	s_and_saveexec_b32 s3, vcc_lo
	s_delay_alu instid0(SALU_CYCLE_1)
	s_xor_b32 s3, exec_lo, s3
	s_cbranch_execz .LBB21_661
; %bb.36:
	v_bfe_u32 v1, v0, 20, 1
	s_mov_b32 s2, exec_lo
	s_delay_alu instid0(VALU_DEP_1) | instskip(NEXT) | instid1(VALU_DEP_1)
	v_add3_u32 v1, v0, v1, 0x487ffff
	v_lshrrev_b32_e32 v1, 20, v1
	s_or_saveexec_b32 s3, s3
                                        ; implicit-def: $sgpr4
	s_delay_alu instid0(SALU_CYCLE_1)
	s_xor_b32 exec_lo, exec_lo, s3
	s_cbranch_execnz .LBB21_662
.LBB21_37:
	s_or_b32 exec_lo, exec_lo, s3
	v_mov_b32_e32 v5, s4
	s_and_saveexec_b32 s3, s2
.LBB21_38:
	v_lshrrev_b32_e32 v5, 24, v0
	s_delay_alu instid0(VALU_DEP_1)
	v_and_or_b32 v5, 0x80, v5, v1
.LBB21_39:
	s_or_b32 exec_lo, exec_lo, s3
.LBB21_40:
	s_delay_alu instid0(SALU_CYCLE_1)
	s_or_b32 exec_lo, exec_lo, s1
	global_store_b8 v[2:3], v5, off
.LBB21_41:
	s_mov_b32 s1, -1
.LBB21_42:
	s_branch .LBB21_83
.LBB21_43:
	v_cmp_lt_i16_e32 vcc_lo, 22, v4
	s_mov_b32 s2, -1
	s_cbranch_vccz .LBB21_75
; %bb.44:
	v_cmp_gt_i16_e32 vcc_lo, 24, v4
	s_mov_b32 s1, -1
	s_cbranch_vccnz .LBB21_64
; %bb.45:
	v_cmp_lt_i16_e32 vcc_lo, 24, v4
	s_cbranch_vccz .LBB21_53
; %bb.46:
	v_and_b32_e32 v1, 0x7fffffff, v0
	v_mov_b32_e32 v5, 0x80
	s_mov_b32 s1, exec_lo
	s_delay_alu instid0(VALU_DEP_2)
	v_cmpx_gt_u32_e32 0x47800000, v1
	s_cbranch_execz .LBB21_52
; %bb.47:
	v_cmp_lt_u32_e32 vcc_lo, 0x37ffffff, v1
	s_mov_b32 s2, 0
                                        ; implicit-def: $vgpr1
	s_and_saveexec_b32 s3, vcc_lo
	s_delay_alu instid0(SALU_CYCLE_1)
	s_xor_b32 s3, exec_lo, s3
	s_cbranch_execz .LBB21_672
; %bb.48:
	v_bfe_u32 v1, v0, 21, 1
	s_mov_b32 s2, exec_lo
	s_delay_alu instid0(VALU_DEP_1) | instskip(NEXT) | instid1(VALU_DEP_1)
	v_add3_u32 v1, v0, v1, 0x88fffff
	v_lshrrev_b32_e32 v1, 21, v1
	s_or_saveexec_b32 s3, s3
                                        ; implicit-def: $sgpr4
	s_delay_alu instid0(SALU_CYCLE_1)
	s_xor_b32 exec_lo, exec_lo, s3
	s_cbranch_execnz .LBB21_673
.LBB21_49:
	s_or_b32 exec_lo, exec_lo, s3
	v_mov_b32_e32 v5, s4
	s_and_saveexec_b32 s3, s2
.LBB21_50:
	v_lshrrev_b32_e32 v5, 24, v0
	s_delay_alu instid0(VALU_DEP_1)
	v_and_or_b32 v5, 0x80, v5, v1
.LBB21_51:
	s_or_b32 exec_lo, exec_lo, s3
.LBB21_52:
	s_delay_alu instid0(SALU_CYCLE_1)
	s_or_b32 exec_lo, exec_lo, s1
	s_mov_b32 s1, 0
	global_store_b8 v[2:3], v5, off
.LBB21_53:
	s_and_b32 vcc_lo, exec_lo, s1
	s_cbranch_vccz .LBB21_63
; %bb.54:
	v_and_b32_e32 v5, 0x7fffffff, v0
	s_mov_b32 s1, exec_lo
                                        ; implicit-def: $vgpr1
	s_delay_alu instid0(VALU_DEP_1)
	v_cmpx_gt_u32_e32 0x43f00000, v5
	s_xor_b32 s1, exec_lo, s1
	s_cbranch_execz .LBB21_60
; %bb.55:
	s_mov_b32 s2, exec_lo
                                        ; implicit-def: $vgpr1
	v_cmpx_lt_u32_e32 0x3c7fffff, v5
	s_xor_b32 s2, exec_lo, s2
; %bb.56:
	v_bfe_u32 v1, v0, 20, 1
	s_delay_alu instid0(VALU_DEP_1) | instskip(NEXT) | instid1(VALU_DEP_1)
	v_add3_u32 v1, v0, v1, 0x407ffff
	v_and_b32_e32 v5, 0xff00000, v1
	v_lshrrev_b32_e32 v1, 20, v1
	s_delay_alu instid0(VALU_DEP_2) | instskip(NEXT) | instid1(VALU_DEP_2)
	v_cmp_ne_u32_e32 vcc_lo, 0x7f00000, v5
	v_cndmask_b32_e32 v1, 0x7e, v1, vcc_lo
; %bb.57:
	s_and_not1_saveexec_b32 s2, s2
; %bb.58:
	v_add_f32_e64 v1, 0x46800000, |v0|
; %bb.59:
	s_or_b32 exec_lo, exec_lo, s2
                                        ; implicit-def: $vgpr5
.LBB21_60:
	s_and_not1_saveexec_b32 s1, s1
; %bb.61:
	v_mov_b32_e32 v1, 0x7f
	v_cmp_lt_u32_e32 vcc_lo, 0x7f800000, v5
	s_delay_alu instid0(VALU_DEP_2)
	v_cndmask_b32_e32 v1, 0x7e, v1, vcc_lo
; %bb.62:
	s_or_b32 exec_lo, exec_lo, s1
	v_lshrrev_b32_e32 v5, 24, v0
	s_delay_alu instid0(VALU_DEP_1)
	v_and_or_b32 v1, 0x80, v5, v1
	global_store_b8 v[2:3], v1, off
.LBB21_63:
	s_mov_b32 s1, 0
.LBB21_64:
	s_delay_alu instid0(SALU_CYCLE_1)
	s_and_not1_b32 vcc_lo, exec_lo, s1
	s_cbranch_vccnz .LBB21_74
; %bb.65:
	v_and_b32_e32 v5, 0x7fffffff, v0
	s_mov_b32 s1, exec_lo
                                        ; implicit-def: $vgpr1
	s_delay_alu instid0(VALU_DEP_1)
	v_cmpx_gt_u32_e32 0x47800000, v5
	s_xor_b32 s1, exec_lo, s1
	s_cbranch_execz .LBB21_71
; %bb.66:
	s_mov_b32 s2, exec_lo
                                        ; implicit-def: $vgpr1
	v_cmpx_lt_u32_e32 0x387fffff, v5
	s_xor_b32 s2, exec_lo, s2
; %bb.67:
	v_bfe_u32 v1, v0, 21, 1
	s_delay_alu instid0(VALU_DEP_1) | instskip(NEXT) | instid1(VALU_DEP_1)
	v_add3_u32 v1, v0, v1, 0x80fffff
	v_lshrrev_b32_e32 v1, 21, v1
; %bb.68:
	s_and_not1_saveexec_b32 s2, s2
; %bb.69:
	v_add_f32_e64 v1, 0x43000000, |v0|
; %bb.70:
	s_or_b32 exec_lo, exec_lo, s2
                                        ; implicit-def: $vgpr5
.LBB21_71:
	s_and_not1_saveexec_b32 s1, s1
; %bb.72:
	v_mov_b32_e32 v1, 0x7f
	v_cmp_lt_u32_e32 vcc_lo, 0x7f800000, v5
	s_delay_alu instid0(VALU_DEP_2)
	v_cndmask_b32_e32 v1, 0x7c, v1, vcc_lo
; %bb.73:
	s_or_b32 exec_lo, exec_lo, s1
	v_lshrrev_b32_e32 v5, 24, v0
	s_delay_alu instid0(VALU_DEP_1)
	v_and_or_b32 v1, 0x80, v5, v1
	global_store_b8 v[2:3], v1, off
.LBB21_74:
	s_mov_b32 s2, 0
	s_mov_b32 s1, -1
.LBB21_75:
	s_and_not1_b32 vcc_lo, exec_lo, s2
	s_cbranch_vccnz .LBB21_83
; %bb.76:
	v_cmp_lt_i16_e32 vcc_lo, 14, v4
	s_mov_b32 s2, -1
	s_cbranch_vccz .LBB21_80
; %bb.77:
	v_cmp_eq_u16_e32 vcc_lo, 15, v4
	s_mov_b32 s0, -1
	s_cbranch_vccz .LBB21_79
; %bb.78:
	v_bfe_u32 v1, v0, 16, 1
	v_cmp_o_f32_e32 vcc_lo, v0, v0
	s_mov_b32 s1, -1
	s_mov_b32 s0, 0
	s_delay_alu instid0(VALU_DEP_2) | instskip(NEXT) | instid1(VALU_DEP_1)
	v_add3_u32 v1, v0, v1, 0x7fff
	v_lshrrev_b32_e32 v1, 16, v1
	s_delay_alu instid0(VALU_DEP_1)
	v_cndmask_b32_e32 v1, 0x7fc0, v1, vcc_lo
	global_store_b16 v[2:3], v1, off
.LBB21_79:
	s_mov_b32 s2, 0
.LBB21_80:
	s_delay_alu instid0(SALU_CYCLE_1)
	s_and_b32 vcc_lo, exec_lo, s2
	s_cbranch_vccz .LBB21_83
; %bb.81:
	v_cmp_eq_u16_e32 vcc_lo, 11, v4
	s_mov_b32 s0, -1
	s_cbranch_vccz .LBB21_83
; %bb.82:
	v_cmp_neq_f32_e32 vcc_lo, 0, v0
	s_mov_b32 s0, 0
	s_mov_b32 s1, -1
	v_cndmask_b32_e64 v1, 0, 1, vcc_lo
	global_store_b8 v[2:3], v1, off
.LBB21_83:
	s_branch .LBB21_10
.LBB21_84:
	v_cmp_gt_i16_e32 vcc_lo, 5, v4
	s_mov_b32 s1, -1
	s_cbranch_vccnz .LBB21_105
; %bb.85:
	v_cmp_gt_i16_e32 vcc_lo, 8, v4
	s_cbranch_vccnz .LBB21_95
; %bb.86:
	v_cmp_gt_i16_e32 vcc_lo, 9, v4
	s_cbranch_vccnz .LBB21_92
; %bb.87:
	v_cmp_lt_i16_e32 vcc_lo, 9, v4
	s_cbranch_vccz .LBB21_89
; %bb.88:
	v_cvt_f64_f32_e32 v[5:6], v0
	v_mov_b32_e32 v7, 0
	s_mov_b32 s1, 0
	s_delay_alu instid0(VALU_DEP_1)
	v_mov_b32_e32 v8, v7
	global_store_b128 v[2:3], v[5:8], off
.LBB21_89:
	s_and_not1_b32 vcc_lo, exec_lo, s1
	s_cbranch_vccnz .LBB21_91
; %bb.90:
	v_mov_b32_e32 v1, 0
	global_store_b64 v[2:3], v[0:1], off
.LBB21_91:
	s_mov_b32 s1, 0
.LBB21_92:
	s_delay_alu instid0(SALU_CYCLE_1)
	s_and_not1_b32 vcc_lo, exec_lo, s1
	s_cbranch_vccnz .LBB21_94
; %bb.93:
	v_cvt_f16_f32_e32 v1, v0
	s_delay_alu instid0(VALU_DEP_1)
	v_and_b32_e32 v1, 0xffff, v1
	global_store_b32 v[2:3], v1, off
.LBB21_94:
	s_mov_b32 s1, 0
.LBB21_95:
	s_delay_alu instid0(SALU_CYCLE_1)
	s_and_not1_b32 vcc_lo, exec_lo, s1
	s_cbranch_vccnz .LBB21_104
; %bb.96:
	v_cmp_gt_i16_e32 vcc_lo, 6, v4
	s_mov_b32 s1, -1
	s_cbranch_vccnz .LBB21_102
; %bb.97:
	v_cmp_lt_i16_e32 vcc_lo, 6, v4
	s_cbranch_vccz .LBB21_99
; %bb.98:
	v_cvt_f64_f32_e32 v[5:6], v0
	s_mov_b32 s1, 0
	global_store_b64 v[2:3], v[5:6], off
.LBB21_99:
	s_and_not1_b32 vcc_lo, exec_lo, s1
	s_cbranch_vccnz .LBB21_101
; %bb.100:
	global_store_b32 v[2:3], v0, off
.LBB21_101:
	s_mov_b32 s1, 0
.LBB21_102:
	s_delay_alu instid0(SALU_CYCLE_1)
	s_and_not1_b32 vcc_lo, exec_lo, s1
	s_cbranch_vccnz .LBB21_104
; %bb.103:
	v_cvt_f16_f32_e32 v1, v0
	global_store_b16 v[2:3], v1, off
.LBB21_104:
	s_mov_b32 s1, 0
.LBB21_105:
	s_delay_alu instid0(SALU_CYCLE_1)
	s_and_not1_b32 vcc_lo, exec_lo, s1
	s_cbranch_vccnz .LBB21_121
; %bb.106:
	v_cmp_gt_i16_e32 vcc_lo, 2, v4
	s_mov_b32 s1, -1
	s_cbranch_vccnz .LBB21_116
; %bb.107:
	v_cmp_gt_i16_e32 vcc_lo, 3, v4
	s_cbranch_vccnz .LBB21_113
; %bb.108:
	v_cmp_lt_i16_e32 vcc_lo, 3, v4
	s_cbranch_vccz .LBB21_110
; %bb.109:
	v_trunc_f32_e32 v1, v0
	s_mov_b32 s1, 0
	s_delay_alu instid0(VALU_DEP_1) | instskip(NEXT) | instid1(VALU_DEP_1)
	v_mul_f32_e64 v5, 0x2f800000, |v1|
	v_floor_f32_e32 v5, v5
	s_delay_alu instid0(VALU_DEP_1) | instskip(SKIP_2) | instid1(VALU_DEP_3)
	v_fma_f32 v6, 0xcf800000, v5, |v1|
	v_ashrrev_i32_e32 v1, 31, v1
	v_cvt_u32_f32_e32 v5, v5
	v_cvt_u32_f32_e32 v6, v6
	s_delay_alu instid0(VALU_DEP_2) | instskip(NEXT) | instid1(VALU_DEP_2)
	v_xor_b32_e32 v7, v5, v1
	v_xor_b32_e32 v6, v6, v1
	s_delay_alu instid0(VALU_DEP_1) | instskip(NEXT) | instid1(VALU_DEP_3)
	v_sub_co_u32 v5, vcc_lo, v6, v1
	v_sub_co_ci_u32_e32 v6, vcc_lo, v7, v1, vcc_lo
	global_store_b64 v[2:3], v[5:6], off
.LBB21_110:
	s_and_not1_b32 vcc_lo, exec_lo, s1
	s_cbranch_vccnz .LBB21_112
; %bb.111:
	v_cvt_i32_f32_e32 v1, v0
	global_store_b32 v[2:3], v1, off
.LBB21_112:
	s_mov_b32 s1, 0
.LBB21_113:
	s_delay_alu instid0(SALU_CYCLE_1)
	s_and_not1_b32 vcc_lo, exec_lo, s1
	s_cbranch_vccnz .LBB21_115
; %bb.114:
	v_cvt_i32_f32_e32 v1, v0
	global_store_b16 v[2:3], v1, off
.LBB21_115:
	s_mov_b32 s1, 0
.LBB21_116:
	s_delay_alu instid0(SALU_CYCLE_1)
	s_and_not1_b32 vcc_lo, exec_lo, s1
	s_cbranch_vccnz .LBB21_121
; %bb.117:
	v_cmp_lt_i16_e32 vcc_lo, 0, v4
	s_mov_b32 s1, -1
	s_cbranch_vccz .LBB21_119
; %bb.118:
	v_cvt_i32_f32_e32 v1, v0
	s_mov_b32 s1, 0
	global_store_b8 v[2:3], v1, off
.LBB21_119:
	s_and_not1_b32 vcc_lo, exec_lo, s1
	s_cbranch_vccnz .LBB21_121
; %bb.120:
	v_trunc_f32_e32 v0, v0
	s_delay_alu instid0(VALU_DEP_1) | instskip(NEXT) | instid1(VALU_DEP_1)
	v_mul_f32_e64 v1, 0x2f800000, |v0|
	v_floor_f32_e32 v1, v1
	s_delay_alu instid0(VALU_DEP_1) | instskip(SKIP_1) | instid1(VALU_DEP_2)
	v_fma_f32 v1, 0xcf800000, v1, |v0|
	v_ashrrev_i32_e32 v0, 31, v0
	v_cvt_u32_f32_e32 v1, v1
	s_delay_alu instid0(VALU_DEP_1) | instskip(NEXT) | instid1(VALU_DEP_1)
	v_xor_b32_e32 v1, v1, v0
	v_sub_nc_u32_e32 v0, v1, v0
	global_store_b8 v[2:3], v0, off
.LBB21_121:
	s_branch .LBB21_11
.LBB21_122:
	s_mov_b32 s1, 0
                                        ; implicit-def: $vgpr26
.LBB21_123:
	s_and_b32 s20, s0, exec_lo
	s_or_not1_b32 s0, s1, exec_lo
.LBB21_124:
	s_or_b32 exec_lo, exec_lo, s22
	s_mov_b32 s1, 0
                                        ; implicit-def: $vgpr4
                                        ; implicit-def: $vgpr2_vgpr3
                                        ; implicit-def: $vgpr0
	s_and_saveexec_b32 s22, s0
	s_cbranch_execz .LBB21_133
; %bb.125:
	s_mov_b32 s2, -1
	s_mov_b32 s23, s20
	s_mov_b32 s24, exec_lo
	v_cmpx_gt_i32_e64 s21, v26
	s_cbranch_execz .LBB21_784
; %bb.126:
	v_dual_mov_b32 v0, s18 :: v_dual_mov_b32 v1, s19
	v_dual_mov_b32 v2, s13 :: v_dual_mov_b32 v3, v27
	v_mov_b32_e32 v4, v26
	s_getpc_b64 s[0:1]
	s_add_u32 s0, s0, _ZN2at6native6invokeIZZZNS0_12_GLOBAL__N_130modified_bessel_k0_kernel_cudaERNS_18TensorIteratorBaseEENKUlvE_clEvENKUlvE0_clEvEUlfE_i15function_traitsIS7_EEENT1_11result_typeERKT_PrKPcPKT0_PKN3c1010ScalarTypeEi@rel32@lo+4
	s_addc_u32 s1, s1, _ZN2at6native6invokeIZZZNS0_12_GLOBAL__N_130modified_bessel_k0_kernel_cudaERNS_18TensorIteratorBaseEENKUlvE_clEvENKUlvE0_clEvEUlfE_i15function_traitsIS7_EEENT1_11result_typeERKT_PrKPcPKT0_PKN3c1010ScalarTypeEi@rel32@hi+12
	s_delay_alu instid0(SALU_CYCLE_1) | instskip(SKIP_2) | instid1(VALU_DEP_1)
	s_swappc_b64 s[30:31], s[0:1]
	v_mul_lo_u32 v1, v26, s12
	v_and_b32_e32 v4, 0xff, v30
	v_cmp_gt_i16_e32 vcc_lo, 11, v4
	s_delay_alu instid0(VALU_DEP_3) | instskip(SKIP_1) | instid1(VALU_DEP_1)
	v_ashrrev_i32_e32 v3, 31, v1
	v_add_co_u32 v2, s0, s16, v1
	v_add_co_ci_u32_e64 v3, s0, s17, v3, s0
	s_cbranch_vccnz .LBB21_567
; %bb.127:
	v_cmp_lt_i16_e32 vcc_lo, 25, v4
	s_cbranch_vccz .LBB21_654
; %bb.128:
	v_cmp_lt_i16_e32 vcc_lo, 28, v4
	s_cbranch_vccz .LBB21_656
	;; [unrolled: 3-line block ×4, first 2 shown]
; %bb.131:
	v_cmp_eq_u16_e32 vcc_lo, 46, v4
	s_mov_b32 s2, 0
	s_mov_b32 s0, -1
	s_mov_b32 s1, 0
	s_cbranch_vccz .LBB21_675
; %bb.132:
	v_bfe_u32 v1, v0, 16, 1
	v_cmp_o_f32_e32 vcc_lo, v0, v0
	s_mov_b32 s1, -1
	s_mov_b32 s0, 0
	s_delay_alu instid0(VALU_DEP_2) | instskip(NEXT) | instid1(VALU_DEP_1)
	v_add3_u32 v1, v0, v1, 0x7fff
	v_lshrrev_b32_e32 v1, 16, v1
	s_delay_alu instid0(VALU_DEP_1)
	v_cndmask_b32_e32 v1, 0x7fc0, v1, vcc_lo
	global_store_b32 v[2:3], v1, off
	s_branch .LBB21_675
.LBB21_133:
	s_or_b32 exec_lo, exec_lo, s22
	s_mov_b32 s0, 0
	s_and_saveexec_b32 s2, s20
	s_cbranch_execnz .LBB21_1020
.LBB21_134:
	s_or_b32 exec_lo, exec_lo, s2
	s_and_saveexec_b32 s2, s23
	s_delay_alu instid0(SALU_CYCLE_1)
	s_xor_b32 s2, exec_lo, s2
	s_cbranch_execz .LBB21_136
.LBB21_135:
	v_cmp_neq_f32_e32 vcc_lo, 0, v0
	v_cndmask_b32_e64 v1, 0, 1, vcc_lo
	global_store_b8 v[2:3], v1, off
.LBB21_136:
	s_or_b32 exec_lo, exec_lo, s2
	s_and_saveexec_b32 s2, s1
	s_delay_alu instid0(SALU_CYCLE_1)
	s_xor_b32 s1, exec_lo, s2
	s_cbranch_execz .LBB21_174
; %bb.137:
	v_cmp_gt_i16_e32 vcc_lo, 5, v4
	s_mov_b32 s2, -1
	s_cbranch_vccnz .LBB21_158
; %bb.138:
	v_cmp_gt_i16_e32 vcc_lo, 8, v4
	s_cbranch_vccnz .LBB21_148
; %bb.139:
	v_cmp_gt_i16_e32 vcc_lo, 9, v4
	s_cbranch_vccnz .LBB21_145
; %bb.140:
	v_cmp_lt_i16_e32 vcc_lo, 9, v4
	s_cbranch_vccz .LBB21_142
; %bb.141:
	v_cvt_f64_f32_e32 v[5:6], v0
	v_mov_b32_e32 v7, 0
	s_mov_b32 s2, 0
	s_delay_alu instid0(VALU_DEP_1)
	v_mov_b32_e32 v8, v7
	global_store_b128 v[2:3], v[5:8], off
.LBB21_142:
	s_and_not1_b32 vcc_lo, exec_lo, s2
	s_cbranch_vccnz .LBB21_144
; %bb.143:
	v_mov_b32_e32 v1, 0
	global_store_b64 v[2:3], v[0:1], off
.LBB21_144:
	s_mov_b32 s2, 0
.LBB21_145:
	s_delay_alu instid0(SALU_CYCLE_1)
	s_and_not1_b32 vcc_lo, exec_lo, s2
	s_cbranch_vccnz .LBB21_147
; %bb.146:
	v_cvt_f16_f32_e32 v1, v0
	s_delay_alu instid0(VALU_DEP_1)
	v_and_b32_e32 v1, 0xffff, v1
	global_store_b32 v[2:3], v1, off
.LBB21_147:
	s_mov_b32 s2, 0
.LBB21_148:
	s_delay_alu instid0(SALU_CYCLE_1)
	s_and_not1_b32 vcc_lo, exec_lo, s2
	s_cbranch_vccnz .LBB21_157
; %bb.149:
	v_cmp_gt_i16_e32 vcc_lo, 6, v4
	s_mov_b32 s2, -1
	s_cbranch_vccnz .LBB21_155
; %bb.150:
	v_cmp_lt_i16_e32 vcc_lo, 6, v4
	s_cbranch_vccz .LBB21_152
; %bb.151:
	v_cvt_f64_f32_e32 v[5:6], v0
	s_mov_b32 s2, 0
	global_store_b64 v[2:3], v[5:6], off
.LBB21_152:
	s_and_not1_b32 vcc_lo, exec_lo, s2
	s_cbranch_vccnz .LBB21_154
; %bb.153:
	global_store_b32 v[2:3], v0, off
.LBB21_154:
	s_mov_b32 s2, 0
.LBB21_155:
	s_delay_alu instid0(SALU_CYCLE_1)
	s_and_not1_b32 vcc_lo, exec_lo, s2
	s_cbranch_vccnz .LBB21_157
; %bb.156:
	v_cvt_f16_f32_e32 v1, v0
	global_store_b16 v[2:3], v1, off
.LBB21_157:
	s_mov_b32 s2, 0
.LBB21_158:
	s_delay_alu instid0(SALU_CYCLE_1)
	s_and_not1_b32 vcc_lo, exec_lo, s2
	s_cbranch_vccnz .LBB21_174
; %bb.159:
	v_cmp_gt_i16_e32 vcc_lo, 2, v4
	s_mov_b32 s2, -1
	s_cbranch_vccnz .LBB21_169
; %bb.160:
	v_cmp_gt_i16_e32 vcc_lo, 3, v4
	s_cbranch_vccnz .LBB21_166
; %bb.161:
	v_cmp_lt_i16_e32 vcc_lo, 3, v4
	s_cbranch_vccz .LBB21_163
; %bb.162:
	v_trunc_f32_e32 v1, v0
	s_mov_b32 s2, 0
	s_delay_alu instid0(VALU_DEP_1) | instskip(NEXT) | instid1(VALU_DEP_1)
	v_mul_f32_e64 v5, 0x2f800000, |v1|
	v_floor_f32_e32 v5, v5
	s_delay_alu instid0(VALU_DEP_1) | instskip(SKIP_2) | instid1(VALU_DEP_3)
	v_fma_f32 v6, 0xcf800000, v5, |v1|
	v_ashrrev_i32_e32 v1, 31, v1
	v_cvt_u32_f32_e32 v5, v5
	v_cvt_u32_f32_e32 v6, v6
	s_delay_alu instid0(VALU_DEP_2) | instskip(NEXT) | instid1(VALU_DEP_2)
	v_xor_b32_e32 v7, v5, v1
	v_xor_b32_e32 v6, v6, v1
	s_delay_alu instid0(VALU_DEP_1) | instskip(NEXT) | instid1(VALU_DEP_3)
	v_sub_co_u32 v5, vcc_lo, v6, v1
	v_sub_co_ci_u32_e32 v6, vcc_lo, v7, v1, vcc_lo
	global_store_b64 v[2:3], v[5:6], off
.LBB21_163:
	s_and_not1_b32 vcc_lo, exec_lo, s2
	s_cbranch_vccnz .LBB21_165
; %bb.164:
	v_cvt_i32_f32_e32 v1, v0
	global_store_b32 v[2:3], v1, off
.LBB21_165:
	s_mov_b32 s2, 0
.LBB21_166:
	s_delay_alu instid0(SALU_CYCLE_1)
	s_and_not1_b32 vcc_lo, exec_lo, s2
	s_cbranch_vccnz .LBB21_168
; %bb.167:
	v_cvt_i32_f32_e32 v1, v0
	global_store_b16 v[2:3], v1, off
.LBB21_168:
	s_mov_b32 s2, 0
.LBB21_169:
	s_delay_alu instid0(SALU_CYCLE_1)
	s_and_not1_b32 vcc_lo, exec_lo, s2
	s_cbranch_vccnz .LBB21_174
; %bb.170:
	v_cmp_lt_i16_e32 vcc_lo, 0, v4
	s_mov_b32 s2, -1
	s_cbranch_vccz .LBB21_172
; %bb.171:
	v_cvt_i32_f32_e32 v1, v0
	s_mov_b32 s2, 0
	global_store_b8 v[2:3], v1, off
.LBB21_172:
	s_and_not1_b32 vcc_lo, exec_lo, s2
	s_cbranch_vccnz .LBB21_174
; %bb.173:
	v_trunc_f32_e32 v0, v0
	s_delay_alu instid0(VALU_DEP_1) | instskip(NEXT) | instid1(VALU_DEP_1)
	v_mul_f32_e64 v1, 0x2f800000, |v0|
	v_floor_f32_e32 v1, v1
	s_delay_alu instid0(VALU_DEP_1) | instskip(SKIP_1) | instid1(VALU_DEP_2)
	v_fma_f32 v1, 0xcf800000, v1, |v0|
	v_ashrrev_i32_e32 v0, 31, v0
	v_cvt_u32_f32_e32 v1, v1
	s_delay_alu instid0(VALU_DEP_1) | instskip(NEXT) | instid1(VALU_DEP_1)
	v_xor_b32_e32 v1, v1, v0
	v_sub_nc_u32_e32 v0, v1, v0
	global_store_b8 v[2:3], v0, off
.LBB21_174:
	s_or_b32 exec_lo, exec_lo, s1
	s_delay_alu instid0(SALU_CYCLE_1)
	s_and_b32 s20, s0, exec_lo
                                        ; implicit-def: $vgpr26
                                        ; implicit-def: $vgpr30
                                        ; implicit-def: $vgpr27
                                        ; implicit-def: $vgpr28
.LBB21_175:
	s_or_saveexec_b32 s15, s15
	s_mov_b32 s0, 0
                                        ; implicit-def: $vgpr4
                                        ; implicit-def: $vgpr2_vgpr3
                                        ; implicit-def: $vgpr0
	s_xor_b32 exec_lo, exec_lo, s15
	s_cbranch_execz .LBB21_611
; %bb.176:
	v_dual_mov_b32 v0, s18 :: v_dual_add_nc_u32 v23, 0x80, v26
	v_dual_mov_b32 v2, s13 :: v_dual_add_nc_u32 v29, 0x100, v26
	v_dual_mov_b32 v1, s19 :: v_dual_mov_b32 v4, v26
	v_mov_b32_e32 v3, v27
	s_getpc_b64 s[22:23]
	s_add_u32 s22, s22, _ZN2at6native6invokeIZZZNS0_12_GLOBAL__N_130modified_bessel_k0_kernel_cudaERNS_18TensorIteratorBaseEENKUlvE_clEvENKUlvE0_clEvEUlfE_i15function_traitsIS7_EEENT1_11result_typeERKT_PrKPcPKT0_PKN3c1010ScalarTypeEi@rel32@lo+4
	s_addc_u32 s23, s23, _ZN2at6native6invokeIZZZNS0_12_GLOBAL__N_130modified_bessel_k0_kernel_cudaERNS_18TensorIteratorBaseEENKUlvE_clEvENKUlvE0_clEvEUlfE_i15function_traitsIS7_EEENT1_11result_typeERKT_PrKPcPKT0_PKN3c1010ScalarTypeEi@rel32@hi+12
	s_delay_alu instid0(SALU_CYCLE_1)
	s_swappc_b64 s[30:31], s[22:23]
	v_dual_mov_b32 v25, v0 :: v_dual_mov_b32 v0, s18
	v_dual_mov_b32 v1, s19 :: v_dual_mov_b32 v2, s13
	v_mov_b32_e32 v3, v27
	v_mov_b32_e32 v4, v23
	s_swappc_b64 s[30:31], s[22:23]
	v_dual_mov_b32 v24, v0 :: v_dual_mov_b32 v1, s19
	v_dual_mov_b32 v0, s18 :: v_dual_mov_b32 v3, v27
	v_mov_b32_e32 v2, s13
	v_mov_b32_e32 v4, v29
	s_swappc_b64 s[30:31], s[22:23]
	s_delay_alu instid0(VALU_DEP_3)
	v_dual_mov_b32 v23, v0 :: v_dual_mov_b32 v0, s18
	v_dual_mov_b32 v1, s19 :: v_dual_mov_b32 v2, s13
	;; [unrolled: 1-line block ×3, first 2 shown]
	s_swappc_b64 s[30:31], s[22:23]
	v_mul_lo_u32 v3, s12, v26
	v_and_b32_e32 v4, 0xff, v30
	s_delay_alu instid0(VALU_DEP_1) | instskip(NEXT) | instid1(VALU_DEP_3)
	v_cmp_gt_i16_e32 vcc_lo, 11, v4
	v_ashrrev_i32_e32 v2, 31, v3
	v_add_co_u32 v1, s0, s16, v3
	s_delay_alu instid0(VALU_DEP_1)
	v_add_co_ci_u32_e64 v2, s0, s17, v2, s0
	s_cbranch_vccnz .LBB21_255
; %bb.177:
	v_cmp_lt_i16_e32 vcc_lo, 25, v4
	s_mov_b32 s1, -1
	s_mov_b32 s2, 0
	s_mov_b32 s3, 0
	;; [unrolled: 1-line block ×3, first 2 shown]
	s_cbranch_vccz .LBB21_210
; %bb.178:
	v_cmp_lt_i16_e32 vcc_lo, 28, v4
	s_cbranch_vccz .LBB21_193
; %bb.179:
	v_cmp_lt_i16_e32 vcc_lo, 43, v4
	;; [unrolled: 3-line block ×3, first 2 shown]
	s_cbranch_vccz .LBB21_183
; %bb.181:
	v_cmp_eq_u16_e32 vcc_lo, 46, v4
	s_mov_b32 s0, -1
	s_mov_b32 s1, 0
	s_cbranch_vccz .LBB21_183
; %bb.182:
	v_bfe_u32 v5, v25, 16, 1
	v_cmp_o_f32_e32 vcc_lo, v25, v25
	s_mov_b32 s0, 0
	s_mov_b32 s3, -1
	s_delay_alu instid0(VALU_DEP_2) | instskip(NEXT) | instid1(VALU_DEP_1)
	v_add3_u32 v5, v25, v5, 0x7fff
	v_lshrrev_b32_e32 v5, 16, v5
	s_delay_alu instid0(VALU_DEP_1)
	v_cndmask_b32_e32 v5, 0x7fc0, v5, vcc_lo
	global_store_b32 v[1:2], v5, off
.LBB21_183:
	s_and_b32 vcc_lo, exec_lo, s1
	s_cbranch_vccz .LBB21_188
; %bb.184:
	v_cmp_eq_u16_e32 vcc_lo, 44, v4
	s_mov_b32 s0, -1
	s_cbranch_vccz .LBB21_188
; %bb.185:
	v_bfe_u32 v6, v25, 23, 8
	v_mov_b32_e32 v5, 0xff
	s_mov_b32 s1, exec_lo
	s_delay_alu instid0(VALU_DEP_2)
	v_cmpx_ne_u32_e32 0xff, v6
; %bb.186:
	v_and_b32_e32 v5, 0x400000, v25
	v_and_or_b32 v6, 0x3fffff, v25, v6
	s_delay_alu instid0(VALU_DEP_2) | instskip(NEXT) | instid1(VALU_DEP_2)
	v_cmp_ne_u32_e32 vcc_lo, 0, v5
	v_cmp_ne_u32_e64 s0, 0, v6
	v_lshrrev_b32_e32 v5, 23, v25
	s_delay_alu instid0(VALU_DEP_2) | instskip(NEXT) | instid1(SALU_CYCLE_1)
	s_and_b32 s0, vcc_lo, s0
	v_cndmask_b32_e64 v6, 0, 1, s0
	s_delay_alu instid0(VALU_DEP_1)
	v_add_nc_u32_e32 v5, v5, v6
; %bb.187:
	s_or_b32 exec_lo, exec_lo, s1
	s_mov_b32 s0, 0
	s_mov_b32 s3, -1
	global_store_b8 v[1:2], v5, off
.LBB21_188:
	s_mov_b32 s1, 0
.LBB21_189:
	s_delay_alu instid0(SALU_CYCLE_1)
	s_and_b32 vcc_lo, exec_lo, s1
	s_cbranch_vccz .LBB21_192
; %bb.190:
	v_cmp_eq_u16_e32 vcc_lo, 29, v4
	s_mov_b32 s0, -1
	s_cbranch_vccz .LBB21_192
; %bb.191:
	v_trunc_f32_e32 v5, v25
	s_mov_b32 s0, 0
	s_mov_b32 s3, -1
	s_delay_alu instid0(VALU_DEP_1) | instskip(NEXT) | instid1(VALU_DEP_1)
	v_mul_f32_e32 v6, 0x2f800000, v5
	v_floor_f32_e32 v6, v6
	s_delay_alu instid0(VALU_DEP_1) | instskip(SKIP_1) | instid1(VALU_DEP_2)
	v_fmamk_f32 v5, v6, 0xcf800000, v5
	v_cvt_u32_f32_e32 v6, v6
	v_cvt_u32_f32_e32 v5, v5
	global_store_b64 v[1:2], v[5:6], off
.LBB21_192:
	s_mov_b32 s1, 0
.LBB21_193:
	s_delay_alu instid0(SALU_CYCLE_1)
	s_and_b32 vcc_lo, exec_lo, s1
	s_cbranch_vccz .LBB21_209
; %bb.194:
	v_cmp_gt_i16_e32 vcc_lo, 27, v4
	s_mov_b32 s1, -1
	s_cbranch_vccnz .LBB21_200
; %bb.195:
	v_cmp_lt_i16_e32 vcc_lo, 27, v4
	s_cbranch_vccz .LBB21_197
; %bb.196:
	v_cvt_u32_f32_e32 v5, v25
	s_mov_b32 s1, 0
	global_store_b32 v[1:2], v5, off
.LBB21_197:
	s_and_not1_b32 vcc_lo, exec_lo, s1
	s_cbranch_vccnz .LBB21_199
; %bb.198:
	v_cvt_u32_f32_e32 v5, v25
	global_store_b16 v[1:2], v5, off
.LBB21_199:
	s_mov_b32 s1, 0
.LBB21_200:
	s_delay_alu instid0(SALU_CYCLE_1)
	s_and_not1_b32 vcc_lo, exec_lo, s1
	s_cbranch_vccnz .LBB21_208
; %bb.201:
	v_and_b32_e32 v5, 0x7fffffff, v25
	v_mov_b32_e32 v6, 0x80
	s_mov_b32 s1, exec_lo
	s_delay_alu instid0(VALU_DEP_2)
	v_cmpx_gt_u32_e32 0x43800000, v5
	s_cbranch_execz .LBB21_207
; %bb.202:
	v_cmp_lt_u32_e32 vcc_lo, 0x3bffffff, v5
	s_mov_b32 s3, 0
                                        ; implicit-def: $vgpr5
	s_and_saveexec_b32 s4, vcc_lo
	s_delay_alu instid0(SALU_CYCLE_1)
	s_xor_b32 s4, exec_lo, s4
	s_cbranch_execz .LBB21_657
; %bb.203:
	v_bfe_u32 v5, v25, 20, 1
	s_mov_b32 s3, exec_lo
	s_delay_alu instid0(VALU_DEP_1) | instskip(NEXT) | instid1(VALU_DEP_1)
	v_add3_u32 v5, v25, v5, 0x487ffff
	v_lshrrev_b32_e32 v5, 20, v5
	s_or_saveexec_b32 s4, s4
                                        ; implicit-def: $sgpr5
	s_delay_alu instid0(SALU_CYCLE_1)
	s_xor_b32 exec_lo, exec_lo, s4
	s_cbranch_execnz .LBB21_658
.LBB21_204:
	s_or_b32 exec_lo, exec_lo, s4
	v_mov_b32_e32 v6, s5
	s_and_saveexec_b32 s4, s3
.LBB21_205:
	v_lshrrev_b32_e32 v6, 24, v25
	s_delay_alu instid0(VALU_DEP_1)
	v_and_or_b32 v6, 0x80, v6, v5
.LBB21_206:
	s_or_b32 exec_lo, exec_lo, s4
.LBB21_207:
	s_delay_alu instid0(SALU_CYCLE_1)
	s_or_b32 exec_lo, exec_lo, s1
	global_store_b8 v[1:2], v6, off
.LBB21_208:
	s_mov_b32 s3, -1
.LBB21_209:
	s_mov_b32 s1, 0
.LBB21_210:
	s_delay_alu instid0(SALU_CYCLE_1)
	s_and_b32 vcc_lo, exec_lo, s1
	s_cbranch_vccz .LBB21_250
; %bb.211:
	v_cmp_lt_i16_e32 vcc_lo, 22, v4
	s_mov_b32 s1, -1
	s_cbranch_vccz .LBB21_243
; %bb.212:
	v_cmp_gt_i16_e32 vcc_lo, 24, v4
	s_cbranch_vccnz .LBB21_232
; %bb.213:
	v_cmp_lt_i16_e32 vcc_lo, 24, v4
	s_cbranch_vccz .LBB21_221
; %bb.214:
	v_and_b32_e32 v5, 0x7fffffff, v25
	v_mov_b32_e32 v6, 0x80
	s_mov_b32 s1, exec_lo
	s_delay_alu instid0(VALU_DEP_2)
	v_cmpx_gt_u32_e32 0x47800000, v5
	s_cbranch_execz .LBB21_220
; %bb.215:
	v_cmp_lt_u32_e32 vcc_lo, 0x37ffffff, v5
                                        ; implicit-def: $vgpr5
	s_and_saveexec_b32 s3, vcc_lo
	s_delay_alu instid0(SALU_CYCLE_1)
	s_xor_b32 s3, exec_lo, s3
	s_cbranch_execz .LBB21_664
; %bb.216:
	v_bfe_u32 v5, v25, 21, 1
	s_mov_b32 s2, exec_lo
	s_delay_alu instid0(VALU_DEP_1) | instskip(NEXT) | instid1(VALU_DEP_1)
	v_add3_u32 v5, v25, v5, 0x88fffff
	v_lshrrev_b32_e32 v5, 21, v5
	s_or_saveexec_b32 s3, s3
                                        ; implicit-def: $sgpr4
	s_delay_alu instid0(SALU_CYCLE_1)
	s_xor_b32 exec_lo, exec_lo, s3
	s_cbranch_execnz .LBB21_665
.LBB21_217:
	s_or_b32 exec_lo, exec_lo, s3
	v_mov_b32_e32 v6, s4
	s_and_saveexec_b32 s3, s2
.LBB21_218:
	v_lshrrev_b32_e32 v6, 24, v25
	s_delay_alu instid0(VALU_DEP_1)
	v_and_or_b32 v6, 0x80, v6, v5
.LBB21_219:
	s_or_b32 exec_lo, exec_lo, s3
.LBB21_220:
	s_delay_alu instid0(SALU_CYCLE_1)
	s_or_b32 exec_lo, exec_lo, s1
	s_mov_b32 s1, 0
	global_store_b8 v[1:2], v6, off
.LBB21_221:
	s_and_b32 vcc_lo, exec_lo, s1
	s_cbranch_vccz .LBB21_231
; %bb.222:
	v_and_b32_e32 v6, 0x7fffffff, v25
	s_mov_b32 s1, exec_lo
                                        ; implicit-def: $vgpr5
	s_delay_alu instid0(VALU_DEP_1)
	v_cmpx_gt_u32_e32 0x43f00000, v6
	s_xor_b32 s1, exec_lo, s1
	s_cbranch_execz .LBB21_228
; %bb.223:
	s_mov_b32 s2, exec_lo
                                        ; implicit-def: $vgpr5
	v_cmpx_lt_u32_e32 0x3c7fffff, v6
	s_xor_b32 s2, exec_lo, s2
; %bb.224:
	v_bfe_u32 v5, v25, 20, 1
	s_delay_alu instid0(VALU_DEP_1) | instskip(NEXT) | instid1(VALU_DEP_1)
	v_add3_u32 v5, v25, v5, 0x407ffff
	v_and_b32_e32 v6, 0xff00000, v5
	v_lshrrev_b32_e32 v5, 20, v5
	s_delay_alu instid0(VALU_DEP_2) | instskip(NEXT) | instid1(VALU_DEP_2)
	v_cmp_ne_u32_e32 vcc_lo, 0x7f00000, v6
	v_cndmask_b32_e32 v5, 0x7e, v5, vcc_lo
; %bb.225:
	s_and_not1_saveexec_b32 s2, s2
; %bb.226:
	v_add_f32_e64 v5, 0x46800000, |v25|
; %bb.227:
	s_or_b32 exec_lo, exec_lo, s2
                                        ; implicit-def: $vgpr6
.LBB21_228:
	s_and_not1_saveexec_b32 s1, s1
; %bb.229:
	v_mov_b32_e32 v5, 0x7f
	v_cmp_lt_u32_e32 vcc_lo, 0x7f800000, v6
	s_delay_alu instid0(VALU_DEP_2)
	v_cndmask_b32_e32 v5, 0x7e, v5, vcc_lo
; %bb.230:
	s_or_b32 exec_lo, exec_lo, s1
	v_lshrrev_b32_e32 v6, 24, v25
	s_delay_alu instid0(VALU_DEP_1)
	v_and_or_b32 v5, 0x80, v6, v5
	global_store_b8 v[1:2], v5, off
.LBB21_231:
	s_mov_b32 s1, 0
.LBB21_232:
	s_delay_alu instid0(SALU_CYCLE_1)
	s_and_not1_b32 vcc_lo, exec_lo, s1
	s_cbranch_vccnz .LBB21_242
; %bb.233:
	v_and_b32_e32 v6, 0x7fffffff, v25
	s_mov_b32 s1, exec_lo
                                        ; implicit-def: $vgpr5
	s_delay_alu instid0(VALU_DEP_1)
	v_cmpx_gt_u32_e32 0x47800000, v6
	s_xor_b32 s1, exec_lo, s1
	s_cbranch_execz .LBB21_239
; %bb.234:
	s_mov_b32 s2, exec_lo
                                        ; implicit-def: $vgpr5
	v_cmpx_lt_u32_e32 0x387fffff, v6
	s_xor_b32 s2, exec_lo, s2
; %bb.235:
	v_bfe_u32 v5, v25, 21, 1
	s_delay_alu instid0(VALU_DEP_1) | instskip(NEXT) | instid1(VALU_DEP_1)
	v_add3_u32 v5, v25, v5, 0x80fffff
	v_lshrrev_b32_e32 v5, 21, v5
; %bb.236:
	s_and_not1_saveexec_b32 s2, s2
; %bb.237:
	v_add_f32_e64 v5, 0x43000000, |v25|
; %bb.238:
	s_or_b32 exec_lo, exec_lo, s2
                                        ; implicit-def: $vgpr6
.LBB21_239:
	s_and_not1_saveexec_b32 s1, s1
; %bb.240:
	v_mov_b32_e32 v5, 0x7f
	v_cmp_lt_u32_e32 vcc_lo, 0x7f800000, v6
	s_delay_alu instid0(VALU_DEP_2)
	v_cndmask_b32_e32 v5, 0x7c, v5, vcc_lo
; %bb.241:
	s_or_b32 exec_lo, exec_lo, s1
	v_lshrrev_b32_e32 v6, 24, v25
	s_delay_alu instid0(VALU_DEP_1)
	v_and_or_b32 v5, 0x80, v6, v5
	global_store_b8 v[1:2], v5, off
.LBB21_242:
	s_mov_b32 s1, 0
	s_mov_b32 s3, -1
.LBB21_243:
	s_and_not1_b32 vcc_lo, exec_lo, s1
	s_mov_b32 s2, 0
	s_cbranch_vccnz .LBB21_250
; %bb.244:
	v_cmp_lt_i16_e32 vcc_lo, 14, v4
	s_mov_b32 s1, -1
	s_cbranch_vccz .LBB21_248
; %bb.245:
	v_cmp_eq_u16_e32 vcc_lo, 15, v4
	s_mov_b32 s0, -1
	s_cbranch_vccz .LBB21_247
; %bb.246:
	v_bfe_u32 v5, v25, 16, 1
	v_cmp_o_f32_e32 vcc_lo, v25, v25
	s_mov_b32 s0, 0
	s_mov_b32 s3, -1
	s_delay_alu instid0(VALU_DEP_2) | instskip(NEXT) | instid1(VALU_DEP_1)
	v_add3_u32 v5, v25, v5, 0x7fff
	v_lshrrev_b32_e32 v5, 16, v5
	s_delay_alu instid0(VALU_DEP_1)
	v_cndmask_b32_e32 v5, 0x7fc0, v5, vcc_lo
	global_store_b16 v[1:2], v5, off
.LBB21_247:
	s_mov_b32 s1, 0
.LBB21_248:
	s_delay_alu instid0(SALU_CYCLE_1)
	s_and_b32 vcc_lo, exec_lo, s1
	s_cbranch_vccz .LBB21_250
; %bb.249:
	v_cmp_ne_u16_e64 s0, 11, v4
	s_mov_b32 s2, -1
.LBB21_250:
	s_delay_alu instid0(VALU_DEP_1)
	s_and_b32 vcc_lo, exec_lo, s0
	s_mov_b32 s1, s20
	s_cbranch_vccnz .LBB21_659
; %bb.251:
	s_and_not1_b32 vcc_lo, exec_lo, s2
	s_cbranch_vccnz .LBB21_253
.LBB21_252:
	v_cmp_neq_f32_e32 vcc_lo, 0, v25
	s_mov_b32 s3, -1
	v_cndmask_b32_e64 v5, 0, 1, vcc_lo
	global_store_b8 v[1:2], v5, off
.LBB21_253:
.LBB21_254:
	s_and_not1_b32 vcc_lo, exec_lo, s3
	s_cbranch_vccz .LBB21_294
	s_branch .LBB21_609
.LBB21_255:
	s_mov_b32 s3, 0
	s_mov_b32 s1, s20
	s_cbranch_execz .LBB21_254
; %bb.256:
	v_cmp_gt_i16_e32 vcc_lo, 5, v4
	s_mov_b32 s0, -1
	s_cbranch_vccnz .LBB21_277
; %bb.257:
	v_cmp_gt_i16_e32 vcc_lo, 8, v4
	s_cbranch_vccnz .LBB21_267
; %bb.258:
	v_cmp_gt_i16_e32 vcc_lo, 9, v4
	s_cbranch_vccnz .LBB21_264
; %bb.259:
	v_cmp_lt_i16_e32 vcc_lo, 9, v4
	s_cbranch_vccz .LBB21_261
; %bb.260:
	v_cvt_f64_f32_e32 v[5:6], v25
	v_mov_b32_e32 v7, 0
	s_mov_b32 s0, 0
	s_delay_alu instid0(VALU_DEP_1)
	v_mov_b32_e32 v8, v7
	global_store_b128 v[1:2], v[5:8], off
.LBB21_261:
	s_and_not1_b32 vcc_lo, exec_lo, s0
	s_cbranch_vccnz .LBB21_263
; %bb.262:
	v_mov_b32_e32 v26, 0
	global_store_b64 v[1:2], v[25:26], off
.LBB21_263:
	s_mov_b32 s0, 0
.LBB21_264:
	s_delay_alu instid0(SALU_CYCLE_1)
	s_and_not1_b32 vcc_lo, exec_lo, s0
	s_cbranch_vccnz .LBB21_266
; %bb.265:
	v_cvt_f16_f32_e32 v5, v25
	s_delay_alu instid0(VALU_DEP_1)
	v_and_b32_e32 v5, 0xffff, v5
	global_store_b32 v[1:2], v5, off
.LBB21_266:
	s_mov_b32 s0, 0
.LBB21_267:
	s_delay_alu instid0(SALU_CYCLE_1)
	s_and_not1_b32 vcc_lo, exec_lo, s0
	s_cbranch_vccnz .LBB21_276
; %bb.268:
	v_cmp_gt_i16_e32 vcc_lo, 6, v4
	s_mov_b32 s0, -1
	s_cbranch_vccnz .LBB21_274
; %bb.269:
	v_cmp_lt_i16_e32 vcc_lo, 6, v4
	s_cbranch_vccz .LBB21_271
; %bb.270:
	v_cvt_f64_f32_e32 v[5:6], v25
	s_mov_b32 s0, 0
	global_store_b64 v[1:2], v[5:6], off
.LBB21_271:
	s_and_not1_b32 vcc_lo, exec_lo, s0
	s_cbranch_vccnz .LBB21_273
; %bb.272:
	global_store_b32 v[1:2], v25, off
.LBB21_273:
	s_mov_b32 s0, 0
.LBB21_274:
	s_delay_alu instid0(SALU_CYCLE_1)
	s_and_not1_b32 vcc_lo, exec_lo, s0
	s_cbranch_vccnz .LBB21_276
; %bb.275:
	v_cvt_f16_f32_e32 v5, v25
	global_store_b16 v[1:2], v5, off
.LBB21_276:
	s_mov_b32 s0, 0
.LBB21_277:
	s_delay_alu instid0(SALU_CYCLE_1)
	s_and_not1_b32 vcc_lo, exec_lo, s0
	s_cbranch_vccnz .LBB21_293
; %bb.278:
	v_cmp_gt_i16_e32 vcc_lo, 2, v4
	s_mov_b32 s0, -1
	s_cbranch_vccnz .LBB21_288
; %bb.279:
	v_cmp_gt_i16_e32 vcc_lo, 3, v4
	s_cbranch_vccnz .LBB21_285
; %bb.280:
	v_cmp_lt_i16_e32 vcc_lo, 3, v4
	s_cbranch_vccz .LBB21_282
; %bb.281:
	v_trunc_f32_e32 v5, v25
	s_mov_b32 s0, 0
	s_delay_alu instid0(VALU_DEP_1) | instskip(SKIP_1) | instid1(VALU_DEP_2)
	v_mul_f32_e64 v6, 0x2f800000, |v5|
	v_ashrrev_i32_e32 v8, 31, v5
	v_floor_f32_e32 v6, v6
	s_delay_alu instid0(VALU_DEP_1) | instskip(SKIP_1) | instid1(VALU_DEP_2)
	v_fma_f32 v7, 0xcf800000, v6, |v5|
	v_cvt_u32_f32_e32 v6, v6
	v_cvt_u32_f32_e32 v5, v7
	s_delay_alu instid0(VALU_DEP_2) | instskip(NEXT) | instid1(VALU_DEP_2)
	v_xor_b32_e32 v6, v6, v8
	v_xor_b32_e32 v5, v5, v8
	s_delay_alu instid0(VALU_DEP_1) | instskip(NEXT) | instid1(VALU_DEP_3)
	v_sub_co_u32 v5, vcc_lo, v5, v8
	v_sub_co_ci_u32_e32 v6, vcc_lo, v6, v8, vcc_lo
	global_store_b64 v[1:2], v[5:6], off
.LBB21_282:
	s_and_not1_b32 vcc_lo, exec_lo, s0
	s_cbranch_vccnz .LBB21_284
; %bb.283:
	v_cvt_i32_f32_e32 v5, v25
	global_store_b32 v[1:2], v5, off
.LBB21_284:
	s_mov_b32 s0, 0
.LBB21_285:
	s_delay_alu instid0(SALU_CYCLE_1)
	s_and_not1_b32 vcc_lo, exec_lo, s0
	s_cbranch_vccnz .LBB21_287
; %bb.286:
	v_cvt_i32_f32_e32 v5, v25
	global_store_b16 v[1:2], v5, off
.LBB21_287:
	s_mov_b32 s0, 0
.LBB21_288:
	s_delay_alu instid0(SALU_CYCLE_1)
	s_and_not1_b32 vcc_lo, exec_lo, s0
	s_cbranch_vccnz .LBB21_293
; %bb.289:
	v_cmp_lt_i16_e32 vcc_lo, 0, v4
	s_mov_b32 s0, -1
	s_cbranch_vccz .LBB21_291
; %bb.290:
	v_cvt_i32_f32_e32 v5, v25
	s_mov_b32 s0, 0
	global_store_b8 v[1:2], v5, off
.LBB21_291:
	s_and_not1_b32 vcc_lo, exec_lo, s0
	s_cbranch_vccnz .LBB21_293
; %bb.292:
	v_trunc_f32_e32 v5, v25
	s_delay_alu instid0(VALU_DEP_1) | instskip(NEXT) | instid1(VALU_DEP_1)
	v_mul_f32_e64 v6, 0x2f800000, |v5|
	v_floor_f32_e32 v6, v6
	s_delay_alu instid0(VALU_DEP_1) | instskip(SKIP_1) | instid1(VALU_DEP_2)
	v_fma_f32 v6, 0xcf800000, v6, |v5|
	v_ashrrev_i32_e32 v5, 31, v5
	v_cvt_u32_f32_e32 v6, v6
	s_delay_alu instid0(VALU_DEP_1) | instskip(NEXT) | instid1(VALU_DEP_1)
	v_xor_b32_e32 v6, v6, v5
	v_sub_nc_u32_e32 v5, v6, v5
	global_store_b8 v[1:2], v5, off
.LBB21_293:
.LBB21_294:
	s_lshl_b32 s2, s12, 7
	v_cmp_gt_i16_e32 vcc_lo, 11, v4
	v_add_nc_u32_e32 v3, s2, v3
	s_delay_alu instid0(VALU_DEP_1) | instskip(SKIP_1) | instid1(VALU_DEP_1)
	v_ashrrev_i32_e32 v2, 31, v3
	v_add_co_u32 v1, s0, s16, v3
	v_add_co_ci_u32_e64 v2, s0, s17, v2, s0
	s_cbranch_vccnz .LBB21_373
; %bb.295:
	v_cmp_lt_i16_e32 vcc_lo, 25, v4
	s_mov_b32 s5, -1
	s_mov_b32 s3, 0
	s_mov_b32 s4, 0
	;; [unrolled: 1-line block ×3, first 2 shown]
	s_cbranch_vccz .LBB21_328
; %bb.296:
	v_cmp_lt_i16_e32 vcc_lo, 28, v4
	s_cbranch_vccz .LBB21_311
; %bb.297:
	v_cmp_lt_i16_e32 vcc_lo, 43, v4
	;; [unrolled: 3-line block ×3, first 2 shown]
	s_cbranch_vccz .LBB21_301
; %bb.299:
	v_cmp_eq_u16_e32 vcc_lo, 46, v4
	s_mov_b32 s0, -1
	s_mov_b32 s5, 0
	s_cbranch_vccz .LBB21_301
; %bb.300:
	v_bfe_u32 v5, v24, 16, 1
	v_cmp_o_f32_e32 vcc_lo, v24, v24
	s_mov_b32 s0, 0
	s_mov_b32 s4, -1
	s_delay_alu instid0(VALU_DEP_2) | instskip(NEXT) | instid1(VALU_DEP_1)
	v_add3_u32 v5, v24, v5, 0x7fff
	v_lshrrev_b32_e32 v5, 16, v5
	s_delay_alu instid0(VALU_DEP_1)
	v_cndmask_b32_e32 v5, 0x7fc0, v5, vcc_lo
	global_store_b32 v[1:2], v5, off
.LBB21_301:
	s_and_b32 vcc_lo, exec_lo, s5
	s_cbranch_vccz .LBB21_306
; %bb.302:
	v_cmp_eq_u16_e32 vcc_lo, 44, v4
	s_mov_b32 s0, -1
	s_cbranch_vccz .LBB21_306
; %bb.303:
	v_bfe_u32 v6, v24, 23, 8
	v_mov_b32_e32 v5, 0xff
	s_mov_b32 s4, exec_lo
	s_delay_alu instid0(VALU_DEP_2)
	v_cmpx_ne_u32_e32 0xff, v6
; %bb.304:
	v_and_b32_e32 v5, 0x400000, v24
	v_and_or_b32 v6, 0x3fffff, v24, v6
	s_delay_alu instid0(VALU_DEP_2) | instskip(NEXT) | instid1(VALU_DEP_2)
	v_cmp_ne_u32_e32 vcc_lo, 0, v5
	v_cmp_ne_u32_e64 s0, 0, v6
	v_lshrrev_b32_e32 v5, 23, v24
	s_delay_alu instid0(VALU_DEP_2) | instskip(NEXT) | instid1(SALU_CYCLE_1)
	s_and_b32 s0, vcc_lo, s0
	v_cndmask_b32_e64 v6, 0, 1, s0
	s_delay_alu instid0(VALU_DEP_1)
	v_add_nc_u32_e32 v5, v5, v6
; %bb.305:
	s_or_b32 exec_lo, exec_lo, s4
	s_mov_b32 s0, 0
	s_mov_b32 s4, -1
	global_store_b8 v[1:2], v5, off
.LBB21_306:
	s_mov_b32 s5, 0
.LBB21_307:
	s_delay_alu instid0(SALU_CYCLE_1)
	s_and_b32 vcc_lo, exec_lo, s5
	s_cbranch_vccz .LBB21_310
; %bb.308:
	v_cmp_eq_u16_e32 vcc_lo, 29, v4
	s_mov_b32 s0, -1
	s_cbranch_vccz .LBB21_310
; %bb.309:
	v_trunc_f32_e32 v5, v24
	s_mov_b32 s0, 0
	s_mov_b32 s4, -1
	s_delay_alu instid0(VALU_DEP_1) | instskip(NEXT) | instid1(VALU_DEP_1)
	v_mul_f32_e32 v6, 0x2f800000, v5
	v_floor_f32_e32 v6, v6
	s_delay_alu instid0(VALU_DEP_1) | instskip(SKIP_1) | instid1(VALU_DEP_2)
	v_fmamk_f32 v5, v6, 0xcf800000, v5
	v_cvt_u32_f32_e32 v6, v6
	v_cvt_u32_f32_e32 v5, v5
	global_store_b64 v[1:2], v[5:6], off
.LBB21_310:
	s_mov_b32 s5, 0
.LBB21_311:
	s_delay_alu instid0(SALU_CYCLE_1)
	s_and_b32 vcc_lo, exec_lo, s5
	s_cbranch_vccz .LBB21_327
; %bb.312:
	v_cmp_gt_i16_e32 vcc_lo, 27, v4
	s_mov_b32 s4, -1
	s_cbranch_vccnz .LBB21_318
; %bb.313:
	v_cmp_lt_i16_e32 vcc_lo, 27, v4
	v_cvt_u32_f32_e32 v5, v24
	s_cbranch_vccz .LBB21_315
; %bb.314:
	s_mov_b32 s4, 0
	global_store_b32 v[1:2], v5, off
.LBB21_315:
	s_and_not1_b32 vcc_lo, exec_lo, s4
	s_cbranch_vccnz .LBB21_317
; %bb.316:
	global_store_b16 v[1:2], v5, off
.LBB21_317:
	s_mov_b32 s4, 0
.LBB21_318:
	s_delay_alu instid0(SALU_CYCLE_1)
	s_and_not1_b32 vcc_lo, exec_lo, s4
	s_cbranch_vccnz .LBB21_326
; %bb.319:
	v_and_b32_e32 v5, 0x7fffffff, v24
	v_mov_b32_e32 v6, 0x80
	s_mov_b32 s4, exec_lo
	s_delay_alu instid0(VALU_DEP_2)
	v_cmpx_gt_u32_e32 0x43800000, v5
	s_cbranch_execz .LBB21_325
; %bb.320:
	v_cmp_lt_u32_e32 vcc_lo, 0x3bffffff, v5
	s_mov_b32 s5, 0
                                        ; implicit-def: $vgpr5
	s_and_saveexec_b32 s6, vcc_lo
	s_delay_alu instid0(SALU_CYCLE_1)
	s_xor_b32 s6, exec_lo, s6
	s_cbranch_execz .LBB21_666
; %bb.321:
	v_bfe_u32 v5, v24, 20, 1
	s_mov_b32 s5, exec_lo
	s_delay_alu instid0(VALU_DEP_1) | instskip(NEXT) | instid1(VALU_DEP_1)
	v_add3_u32 v5, v24, v5, 0x487ffff
	v_lshrrev_b32_e32 v5, 20, v5
	s_or_saveexec_b32 s6, s6
                                        ; implicit-def: $sgpr7
	s_delay_alu instid0(SALU_CYCLE_1)
	s_xor_b32 exec_lo, exec_lo, s6
	s_cbranch_execnz .LBB21_667
.LBB21_322:
	s_or_b32 exec_lo, exec_lo, s6
	v_mov_b32_e32 v6, s7
	s_and_saveexec_b32 s6, s5
.LBB21_323:
	v_lshrrev_b32_e32 v6, 24, v24
	s_delay_alu instid0(VALU_DEP_1)
	v_and_or_b32 v6, 0x80, v6, v5
.LBB21_324:
	s_or_b32 exec_lo, exec_lo, s6
.LBB21_325:
	s_delay_alu instid0(SALU_CYCLE_1)
	s_or_b32 exec_lo, exec_lo, s4
	global_store_b8 v[1:2], v6, off
.LBB21_326:
	s_mov_b32 s4, -1
.LBB21_327:
	s_mov_b32 s5, 0
.LBB21_328:
	s_delay_alu instid0(SALU_CYCLE_1)
	s_and_b32 vcc_lo, exec_lo, s5
	s_cbranch_vccz .LBB21_368
; %bb.329:
	v_cmp_lt_i16_e32 vcc_lo, 22, v4
	s_mov_b32 s3, -1
	s_cbranch_vccz .LBB21_361
; %bb.330:
	v_cmp_gt_i16_e32 vcc_lo, 24, v4
	s_cbranch_vccnz .LBB21_350
; %bb.331:
	v_cmp_lt_i16_e32 vcc_lo, 24, v4
	s_cbranch_vccz .LBB21_339
; %bb.332:
	v_and_b32_e32 v5, 0x7fffffff, v24
	v_mov_b32_e32 v6, 0x80
	s_mov_b32 s3, exec_lo
	s_delay_alu instid0(VALU_DEP_2)
	v_cmpx_gt_u32_e32 0x47800000, v5
	s_cbranch_execz .LBB21_338
; %bb.333:
	v_cmp_lt_u32_e32 vcc_lo, 0x37ffffff, v5
	s_mov_b32 s4, 0
                                        ; implicit-def: $vgpr5
	s_and_saveexec_b32 s5, vcc_lo
	s_delay_alu instid0(SALU_CYCLE_1)
	s_xor_b32 s5, exec_lo, s5
	s_cbranch_execz .LBB21_799
; %bb.334:
	v_bfe_u32 v5, v24, 21, 1
	s_mov_b32 s4, exec_lo
	s_delay_alu instid0(VALU_DEP_1) | instskip(NEXT) | instid1(VALU_DEP_1)
	v_add3_u32 v5, v24, v5, 0x88fffff
	v_lshrrev_b32_e32 v5, 21, v5
	s_or_saveexec_b32 s5, s5
                                        ; implicit-def: $sgpr6
	s_delay_alu instid0(SALU_CYCLE_1)
	s_xor_b32 exec_lo, exec_lo, s5
	s_cbranch_execnz .LBB21_800
.LBB21_335:
	s_or_b32 exec_lo, exec_lo, s5
	v_mov_b32_e32 v6, s6
	s_and_saveexec_b32 s5, s4
.LBB21_336:
	v_lshrrev_b32_e32 v6, 24, v24
	s_delay_alu instid0(VALU_DEP_1)
	v_and_or_b32 v6, 0x80, v6, v5
.LBB21_337:
	s_or_b32 exec_lo, exec_lo, s5
.LBB21_338:
	s_delay_alu instid0(SALU_CYCLE_1)
	s_or_b32 exec_lo, exec_lo, s3
	s_mov_b32 s3, 0
	global_store_b8 v[1:2], v6, off
.LBB21_339:
	s_and_b32 vcc_lo, exec_lo, s3
	s_cbranch_vccz .LBB21_349
; %bb.340:
	v_and_b32_e32 v6, 0x7fffffff, v24
	s_mov_b32 s3, exec_lo
                                        ; implicit-def: $vgpr5
	s_delay_alu instid0(VALU_DEP_1)
	v_cmpx_gt_u32_e32 0x43f00000, v6
	s_xor_b32 s3, exec_lo, s3
	s_cbranch_execz .LBB21_346
; %bb.341:
	s_mov_b32 s4, exec_lo
                                        ; implicit-def: $vgpr5
	v_cmpx_lt_u32_e32 0x3c7fffff, v6
	s_xor_b32 s4, exec_lo, s4
; %bb.342:
	v_bfe_u32 v5, v24, 20, 1
	s_delay_alu instid0(VALU_DEP_1) | instskip(NEXT) | instid1(VALU_DEP_1)
	v_add3_u32 v5, v24, v5, 0x407ffff
	v_and_b32_e32 v6, 0xff00000, v5
	v_lshrrev_b32_e32 v5, 20, v5
	s_delay_alu instid0(VALU_DEP_2) | instskip(NEXT) | instid1(VALU_DEP_2)
	v_cmp_ne_u32_e32 vcc_lo, 0x7f00000, v6
	v_cndmask_b32_e32 v5, 0x7e, v5, vcc_lo
; %bb.343:
	s_and_not1_saveexec_b32 s4, s4
; %bb.344:
	v_add_f32_e64 v5, 0x46800000, |v24|
; %bb.345:
	s_or_b32 exec_lo, exec_lo, s4
                                        ; implicit-def: $vgpr6
.LBB21_346:
	s_and_not1_saveexec_b32 s3, s3
; %bb.347:
	v_mov_b32_e32 v5, 0x7f
	v_cmp_lt_u32_e32 vcc_lo, 0x7f800000, v6
	s_delay_alu instid0(VALU_DEP_2)
	v_cndmask_b32_e32 v5, 0x7e, v5, vcc_lo
; %bb.348:
	s_or_b32 exec_lo, exec_lo, s3
	v_lshrrev_b32_e32 v6, 24, v24
	s_delay_alu instid0(VALU_DEP_1)
	v_and_or_b32 v5, 0x80, v6, v5
	global_store_b8 v[1:2], v5, off
.LBB21_349:
	s_mov_b32 s3, 0
.LBB21_350:
	s_delay_alu instid0(SALU_CYCLE_1)
	s_and_not1_b32 vcc_lo, exec_lo, s3
	s_cbranch_vccnz .LBB21_360
; %bb.351:
	v_and_b32_e32 v6, 0x7fffffff, v24
	s_mov_b32 s3, exec_lo
                                        ; implicit-def: $vgpr5
	s_delay_alu instid0(VALU_DEP_1)
	v_cmpx_gt_u32_e32 0x47800000, v6
	s_xor_b32 s3, exec_lo, s3
	s_cbranch_execz .LBB21_357
; %bb.352:
	s_mov_b32 s4, exec_lo
                                        ; implicit-def: $vgpr5
	v_cmpx_lt_u32_e32 0x387fffff, v6
	s_xor_b32 s4, exec_lo, s4
; %bb.353:
	v_bfe_u32 v5, v24, 21, 1
	s_delay_alu instid0(VALU_DEP_1) | instskip(NEXT) | instid1(VALU_DEP_1)
	v_add3_u32 v5, v24, v5, 0x80fffff
	v_lshrrev_b32_e32 v5, 21, v5
; %bb.354:
	s_and_not1_saveexec_b32 s4, s4
; %bb.355:
	v_add_f32_e64 v5, 0x43000000, |v24|
; %bb.356:
	s_or_b32 exec_lo, exec_lo, s4
                                        ; implicit-def: $vgpr6
.LBB21_357:
	s_and_not1_saveexec_b32 s3, s3
; %bb.358:
	v_mov_b32_e32 v5, 0x7f
	v_cmp_lt_u32_e32 vcc_lo, 0x7f800000, v6
	s_delay_alu instid0(VALU_DEP_2)
	v_cndmask_b32_e32 v5, 0x7c, v5, vcc_lo
; %bb.359:
	s_or_b32 exec_lo, exec_lo, s3
	v_lshrrev_b32_e32 v6, 24, v24
	s_delay_alu instid0(VALU_DEP_1)
	v_and_or_b32 v5, 0x80, v6, v5
	global_store_b8 v[1:2], v5, off
.LBB21_360:
	s_mov_b32 s3, 0
	s_mov_b32 s4, -1
.LBB21_361:
	s_and_not1_b32 vcc_lo, exec_lo, s3
	s_mov_b32 s3, 0
	s_cbranch_vccnz .LBB21_368
; %bb.362:
	v_cmp_lt_i16_e32 vcc_lo, 14, v4
	s_mov_b32 s3, -1
	s_cbranch_vccz .LBB21_366
; %bb.363:
	v_cmp_eq_u16_e32 vcc_lo, 15, v4
	s_mov_b32 s0, -1
	s_cbranch_vccz .LBB21_365
; %bb.364:
	v_bfe_u32 v5, v24, 16, 1
	v_cmp_o_f32_e32 vcc_lo, v24, v24
	s_mov_b32 s0, 0
	s_mov_b32 s4, -1
	s_delay_alu instid0(VALU_DEP_2) | instskip(NEXT) | instid1(VALU_DEP_1)
	v_add3_u32 v5, v24, v5, 0x7fff
	v_lshrrev_b32_e32 v5, 16, v5
	s_delay_alu instid0(VALU_DEP_1)
	v_cndmask_b32_e32 v5, 0x7fc0, v5, vcc_lo
	global_store_b16 v[1:2], v5, off
.LBB21_365:
	s_mov_b32 s3, 0
.LBB21_366:
	s_delay_alu instid0(SALU_CYCLE_1)
	s_and_b32 vcc_lo, exec_lo, s3
	s_mov_b32 s3, 0
	s_cbranch_vccz .LBB21_368
; %bb.367:
	v_cmp_ne_u16_e64 s0, 11, v4
	s_mov_b32 s3, -1
.LBB21_368:
	s_delay_alu instid0(VALU_DEP_1)
	s_and_b32 vcc_lo, exec_lo, s0
	s_cbranch_vccnz .LBB21_670
; %bb.369:
	s_and_not1_b32 vcc_lo, exec_lo, s3
	s_cbranch_vccnz .LBB21_371
.LBB21_370:
	v_cmp_neq_f32_e32 vcc_lo, 0, v24
	s_mov_b32 s4, -1
	v_cndmask_b32_e64 v5, 0, 1, vcc_lo
	global_store_b8 v[1:2], v5, off
.LBB21_371:
.LBB21_372:
	s_and_not1_b32 vcc_lo, exec_lo, s4
	s_cbranch_vccz .LBB21_412
	s_branch .LBB21_609
.LBB21_373:
	s_mov_b32 s4, 0
	s_cbranch_execz .LBB21_372
; %bb.374:
	v_cmp_gt_i16_e32 vcc_lo, 5, v4
	s_mov_b32 s0, -1
	s_cbranch_vccnz .LBB21_395
; %bb.375:
	v_cmp_gt_i16_e32 vcc_lo, 8, v4
	s_cbranch_vccnz .LBB21_385
; %bb.376:
	v_cmp_gt_i16_e32 vcc_lo, 9, v4
	s_cbranch_vccnz .LBB21_382
; %bb.377:
	v_cmp_lt_i16_e32 vcc_lo, 9, v4
	s_cbranch_vccz .LBB21_379
; %bb.378:
	v_cvt_f64_f32_e32 v[5:6], v24
	v_mov_b32_e32 v7, 0
	s_mov_b32 s0, 0
	s_delay_alu instid0(VALU_DEP_1)
	v_mov_b32_e32 v8, v7
	global_store_b128 v[1:2], v[5:8], off
.LBB21_379:
	s_and_not1_b32 vcc_lo, exec_lo, s0
	s_cbranch_vccnz .LBB21_381
; %bb.380:
	v_mov_b32_e32 v25, 0
	global_store_b64 v[1:2], v[24:25], off
.LBB21_381:
	s_mov_b32 s0, 0
.LBB21_382:
	s_delay_alu instid0(SALU_CYCLE_1)
	s_and_not1_b32 vcc_lo, exec_lo, s0
	s_cbranch_vccnz .LBB21_384
; %bb.383:
	v_cvt_f16_f32_e32 v5, v24
	s_delay_alu instid0(VALU_DEP_1)
	v_and_b32_e32 v5, 0xffff, v5
	global_store_b32 v[1:2], v5, off
.LBB21_384:
	s_mov_b32 s0, 0
.LBB21_385:
	s_delay_alu instid0(SALU_CYCLE_1)
	s_and_not1_b32 vcc_lo, exec_lo, s0
	s_cbranch_vccnz .LBB21_394
; %bb.386:
	v_cmp_gt_i16_e32 vcc_lo, 6, v4
	s_mov_b32 s0, -1
	s_cbranch_vccnz .LBB21_392
; %bb.387:
	v_cmp_lt_i16_e32 vcc_lo, 6, v4
	s_cbranch_vccz .LBB21_389
; %bb.388:
	v_cvt_f64_f32_e32 v[5:6], v24
	s_mov_b32 s0, 0
	global_store_b64 v[1:2], v[5:6], off
.LBB21_389:
	s_and_not1_b32 vcc_lo, exec_lo, s0
	s_cbranch_vccnz .LBB21_391
; %bb.390:
	global_store_b32 v[1:2], v24, off
.LBB21_391:
	s_mov_b32 s0, 0
.LBB21_392:
	s_delay_alu instid0(SALU_CYCLE_1)
	s_and_not1_b32 vcc_lo, exec_lo, s0
	s_cbranch_vccnz .LBB21_394
; %bb.393:
	v_cvt_f16_f32_e32 v5, v24
	global_store_b16 v[1:2], v5, off
.LBB21_394:
	s_mov_b32 s0, 0
.LBB21_395:
	s_delay_alu instid0(SALU_CYCLE_1)
	s_and_not1_b32 vcc_lo, exec_lo, s0
	s_cbranch_vccnz .LBB21_411
; %bb.396:
	v_cmp_gt_i16_e32 vcc_lo, 2, v4
	s_mov_b32 s0, -1
	s_cbranch_vccnz .LBB21_406
; %bb.397:
	v_cmp_gt_i16_e32 vcc_lo, 3, v4
	s_cbranch_vccnz .LBB21_403
; %bb.398:
	v_cmp_lt_i16_e32 vcc_lo, 3, v4
	s_cbranch_vccz .LBB21_400
; %bb.399:
	v_trunc_f32_e32 v5, v24
	s_mov_b32 s0, 0
	s_delay_alu instid0(VALU_DEP_1) | instskip(SKIP_1) | instid1(VALU_DEP_2)
	v_mul_f32_e64 v6, 0x2f800000, |v5|
	v_ashrrev_i32_e32 v8, 31, v5
	v_floor_f32_e32 v6, v6
	s_delay_alu instid0(VALU_DEP_1) | instskip(SKIP_1) | instid1(VALU_DEP_2)
	v_fma_f32 v7, 0xcf800000, v6, |v5|
	v_cvt_u32_f32_e32 v6, v6
	v_cvt_u32_f32_e32 v5, v7
	s_delay_alu instid0(VALU_DEP_2) | instskip(NEXT) | instid1(VALU_DEP_2)
	v_xor_b32_e32 v6, v6, v8
	v_xor_b32_e32 v5, v5, v8
	s_delay_alu instid0(VALU_DEP_1) | instskip(NEXT) | instid1(VALU_DEP_3)
	v_sub_co_u32 v5, vcc_lo, v5, v8
	v_sub_co_ci_u32_e32 v6, vcc_lo, v6, v8, vcc_lo
	global_store_b64 v[1:2], v[5:6], off
.LBB21_400:
	s_and_not1_b32 vcc_lo, exec_lo, s0
	s_cbranch_vccnz .LBB21_402
; %bb.401:
	v_cvt_i32_f32_e32 v5, v24
	global_store_b32 v[1:2], v5, off
.LBB21_402:
	s_mov_b32 s0, 0
.LBB21_403:
	s_delay_alu instid0(SALU_CYCLE_1)
	s_and_not1_b32 vcc_lo, exec_lo, s0
	s_cbranch_vccnz .LBB21_405
; %bb.404:
	v_cvt_i32_f32_e32 v5, v24
	global_store_b16 v[1:2], v5, off
.LBB21_405:
	s_mov_b32 s0, 0
.LBB21_406:
	s_delay_alu instid0(SALU_CYCLE_1)
	s_and_not1_b32 vcc_lo, exec_lo, s0
	s_cbranch_vccnz .LBB21_411
; %bb.407:
	v_cmp_lt_i16_e32 vcc_lo, 0, v4
	s_mov_b32 s0, -1
	s_cbranch_vccz .LBB21_409
; %bb.408:
	v_cvt_i32_f32_e32 v5, v24
	s_mov_b32 s0, 0
	global_store_b8 v[1:2], v5, off
.LBB21_409:
	s_and_not1_b32 vcc_lo, exec_lo, s0
	s_cbranch_vccnz .LBB21_411
; %bb.410:
	v_trunc_f32_e32 v5, v24
	s_delay_alu instid0(VALU_DEP_1) | instskip(NEXT) | instid1(VALU_DEP_1)
	v_mul_f32_e64 v6, 0x2f800000, |v5|
	v_floor_f32_e32 v6, v6
	s_delay_alu instid0(VALU_DEP_1) | instskip(SKIP_1) | instid1(VALU_DEP_2)
	v_fma_f32 v6, 0xcf800000, v6, |v5|
	v_ashrrev_i32_e32 v5, 31, v5
	v_cvt_u32_f32_e32 v6, v6
	s_delay_alu instid0(VALU_DEP_1) | instskip(NEXT) | instid1(VALU_DEP_1)
	v_xor_b32_e32 v6, v6, v5
	v_sub_nc_u32_e32 v5, v6, v5
	global_store_b8 v[1:2], v5, off
.LBB21_411:
.LBB21_412:
	v_add_nc_u32_e32 v3, s2, v3
	v_cmp_gt_i16_e32 vcc_lo, 11, v4
	s_delay_alu instid0(VALU_DEP_2) | instskip(SKIP_1) | instid1(VALU_DEP_1)
	v_ashrrev_i32_e32 v2, 31, v3
	v_add_co_u32 v1, s0, s16, v3
	v_add_co_ci_u32_e64 v2, s0, s17, v2, s0
	s_cbranch_vccnz .LBB21_570
; %bb.413:
	v_cmp_lt_i16_e32 vcc_lo, 25, v4
	s_mov_b32 s5, -1
	s_mov_b32 s3, 0
	s_mov_b32 s4, 0
	;; [unrolled: 1-line block ×3, first 2 shown]
	s_cbranch_vccz .LBB21_446
; %bb.414:
	v_cmp_lt_i16_e32 vcc_lo, 28, v4
	s_cbranch_vccz .LBB21_429
; %bb.415:
	v_cmp_lt_i16_e32 vcc_lo, 43, v4
	;; [unrolled: 3-line block ×3, first 2 shown]
	s_cbranch_vccz .LBB21_419
; %bb.417:
	v_cmp_eq_u16_e32 vcc_lo, 46, v4
	s_mov_b32 s0, -1
	s_mov_b32 s5, 0
	s_cbranch_vccz .LBB21_419
; %bb.418:
	v_bfe_u32 v5, v23, 16, 1
	v_cmp_o_f32_e32 vcc_lo, v23, v23
	s_mov_b32 s0, 0
	s_mov_b32 s4, -1
	s_delay_alu instid0(VALU_DEP_2) | instskip(NEXT) | instid1(VALU_DEP_1)
	v_add3_u32 v5, v23, v5, 0x7fff
	v_lshrrev_b32_e32 v5, 16, v5
	s_delay_alu instid0(VALU_DEP_1)
	v_cndmask_b32_e32 v5, 0x7fc0, v5, vcc_lo
	global_store_b32 v[1:2], v5, off
.LBB21_419:
	s_and_b32 vcc_lo, exec_lo, s5
	s_cbranch_vccz .LBB21_424
; %bb.420:
	v_cmp_eq_u16_e32 vcc_lo, 44, v4
	s_mov_b32 s0, -1
	s_cbranch_vccz .LBB21_424
; %bb.421:
	v_bfe_u32 v6, v23, 23, 8
	v_mov_b32_e32 v5, 0xff
	s_mov_b32 s4, exec_lo
	s_delay_alu instid0(VALU_DEP_2)
	v_cmpx_ne_u32_e32 0xff, v6
; %bb.422:
	v_and_b32_e32 v5, 0x400000, v23
	v_and_or_b32 v6, 0x3fffff, v23, v6
	s_delay_alu instid0(VALU_DEP_2) | instskip(NEXT) | instid1(VALU_DEP_2)
	v_cmp_ne_u32_e32 vcc_lo, 0, v5
	v_cmp_ne_u32_e64 s0, 0, v6
	v_lshrrev_b32_e32 v5, 23, v23
	s_delay_alu instid0(VALU_DEP_2) | instskip(NEXT) | instid1(SALU_CYCLE_1)
	s_and_b32 s0, vcc_lo, s0
	v_cndmask_b32_e64 v6, 0, 1, s0
	s_delay_alu instid0(VALU_DEP_1)
	v_add_nc_u32_e32 v5, v5, v6
; %bb.423:
	s_or_b32 exec_lo, exec_lo, s4
	s_mov_b32 s0, 0
	s_mov_b32 s4, -1
	global_store_b8 v[1:2], v5, off
.LBB21_424:
	s_mov_b32 s5, 0
.LBB21_425:
	s_delay_alu instid0(SALU_CYCLE_1)
	s_and_b32 vcc_lo, exec_lo, s5
	s_cbranch_vccz .LBB21_428
; %bb.426:
	v_cmp_eq_u16_e32 vcc_lo, 29, v4
	s_mov_b32 s0, -1
	s_cbranch_vccz .LBB21_428
; %bb.427:
	v_trunc_f32_e32 v5, v23
	s_mov_b32 s0, 0
	s_mov_b32 s4, -1
	s_delay_alu instid0(VALU_DEP_1) | instskip(NEXT) | instid1(VALU_DEP_1)
	v_mul_f32_e32 v6, 0x2f800000, v5
	v_floor_f32_e32 v6, v6
	s_delay_alu instid0(VALU_DEP_1) | instskip(SKIP_1) | instid1(VALU_DEP_2)
	v_fmamk_f32 v5, v6, 0xcf800000, v5
	v_cvt_u32_f32_e32 v6, v6
	v_cvt_u32_f32_e32 v5, v5
	global_store_b64 v[1:2], v[5:6], off
.LBB21_428:
	s_mov_b32 s5, 0
.LBB21_429:
	s_delay_alu instid0(SALU_CYCLE_1)
	s_and_b32 vcc_lo, exec_lo, s5
	s_cbranch_vccz .LBB21_445
; %bb.430:
	v_cmp_gt_i16_e32 vcc_lo, 27, v4
	s_mov_b32 s4, -1
	s_cbranch_vccnz .LBB21_436
; %bb.431:
	v_cmp_lt_i16_e32 vcc_lo, 27, v4
	v_cvt_u32_f32_e32 v5, v23
	s_cbranch_vccz .LBB21_433
; %bb.432:
	s_mov_b32 s4, 0
	global_store_b32 v[1:2], v5, off
.LBB21_433:
	s_and_not1_b32 vcc_lo, exec_lo, s4
	s_cbranch_vccnz .LBB21_435
; %bb.434:
	global_store_b16 v[1:2], v5, off
.LBB21_435:
	s_mov_b32 s4, 0
.LBB21_436:
	s_delay_alu instid0(SALU_CYCLE_1)
	s_and_not1_b32 vcc_lo, exec_lo, s4
	s_cbranch_vccnz .LBB21_444
; %bb.437:
	v_and_b32_e32 v5, 0x7fffffff, v23
	v_mov_b32_e32 v6, 0x80
	s_mov_b32 s4, exec_lo
	s_delay_alu instid0(VALU_DEP_2)
	v_cmpx_gt_u32_e32 0x43800000, v5
	s_cbranch_execz .LBB21_443
; %bb.438:
	v_cmp_lt_u32_e32 vcc_lo, 0x3bffffff, v5
	s_mov_b32 s5, 0
                                        ; implicit-def: $vgpr5
	s_and_saveexec_b32 s6, vcc_lo
	s_delay_alu instid0(SALU_CYCLE_1)
	s_xor_b32 s6, exec_lo, s6
	s_cbranch_execz .LBB21_801
; %bb.439:
	v_bfe_u32 v5, v23, 20, 1
	s_mov_b32 s5, exec_lo
	s_delay_alu instid0(VALU_DEP_1) | instskip(NEXT) | instid1(VALU_DEP_1)
	v_add3_u32 v5, v23, v5, 0x487ffff
	v_lshrrev_b32_e32 v5, 20, v5
	s_or_saveexec_b32 s6, s6
                                        ; implicit-def: $sgpr7
	s_delay_alu instid0(SALU_CYCLE_1)
	s_xor_b32 exec_lo, exec_lo, s6
	s_cbranch_execnz .LBB21_802
.LBB21_440:
	s_or_b32 exec_lo, exec_lo, s6
	v_mov_b32_e32 v6, s7
	s_and_saveexec_b32 s6, s5
.LBB21_441:
	v_lshrrev_b32_e32 v6, 24, v23
	s_delay_alu instid0(VALU_DEP_1)
	v_and_or_b32 v6, 0x80, v6, v5
.LBB21_442:
	s_or_b32 exec_lo, exec_lo, s6
.LBB21_443:
	s_delay_alu instid0(SALU_CYCLE_1)
	s_or_b32 exec_lo, exec_lo, s4
	global_store_b8 v[1:2], v6, off
.LBB21_444:
	s_mov_b32 s4, -1
.LBB21_445:
	s_mov_b32 s5, 0
.LBB21_446:
	s_delay_alu instid0(SALU_CYCLE_1)
	s_and_b32 vcc_lo, exec_lo, s5
	s_cbranch_vccz .LBB21_486
; %bb.447:
	v_cmp_lt_i16_e32 vcc_lo, 22, v4
	s_mov_b32 s3, -1
	s_cbranch_vccz .LBB21_479
; %bb.448:
	v_cmp_gt_i16_e32 vcc_lo, 24, v4
	s_cbranch_vccnz .LBB21_468
; %bb.449:
	v_cmp_lt_i16_e32 vcc_lo, 24, v4
	s_cbranch_vccz .LBB21_457
; %bb.450:
	v_and_b32_e32 v5, 0x7fffffff, v23
	v_mov_b32_e32 v6, 0x80
	s_mov_b32 s3, exec_lo
	s_delay_alu instid0(VALU_DEP_2)
	v_cmpx_gt_u32_e32 0x47800000, v5
	s_cbranch_execz .LBB21_456
; %bb.451:
	v_cmp_lt_u32_e32 vcc_lo, 0x37ffffff, v5
	s_mov_b32 s4, 0
                                        ; implicit-def: $vgpr5
	s_and_saveexec_b32 s5, vcc_lo
	s_delay_alu instid0(SALU_CYCLE_1)
	s_xor_b32 s5, exec_lo, s5
	s_cbranch_execz .LBB21_934
; %bb.452:
	v_bfe_u32 v5, v23, 21, 1
	s_mov_b32 s4, exec_lo
	s_delay_alu instid0(VALU_DEP_1) | instskip(NEXT) | instid1(VALU_DEP_1)
	v_add3_u32 v5, v23, v5, 0x88fffff
	v_lshrrev_b32_e32 v5, 21, v5
	s_or_saveexec_b32 s5, s5
                                        ; implicit-def: $sgpr6
	s_delay_alu instid0(SALU_CYCLE_1)
	s_xor_b32 exec_lo, exec_lo, s5
	s_cbranch_execnz .LBB21_935
.LBB21_453:
	s_or_b32 exec_lo, exec_lo, s5
	v_mov_b32_e32 v6, s6
	s_and_saveexec_b32 s5, s4
.LBB21_454:
	v_lshrrev_b32_e32 v6, 24, v23
	s_delay_alu instid0(VALU_DEP_1)
	v_and_or_b32 v6, 0x80, v6, v5
.LBB21_455:
	s_or_b32 exec_lo, exec_lo, s5
.LBB21_456:
	s_delay_alu instid0(SALU_CYCLE_1)
	s_or_b32 exec_lo, exec_lo, s3
	s_mov_b32 s3, 0
	global_store_b8 v[1:2], v6, off
.LBB21_457:
	s_and_b32 vcc_lo, exec_lo, s3
	s_cbranch_vccz .LBB21_467
; %bb.458:
	v_and_b32_e32 v6, 0x7fffffff, v23
	s_mov_b32 s3, exec_lo
                                        ; implicit-def: $vgpr5
	s_delay_alu instid0(VALU_DEP_1)
	v_cmpx_gt_u32_e32 0x43f00000, v6
	s_xor_b32 s3, exec_lo, s3
	s_cbranch_execz .LBB21_464
; %bb.459:
	s_mov_b32 s4, exec_lo
                                        ; implicit-def: $vgpr5
	v_cmpx_lt_u32_e32 0x3c7fffff, v6
	s_xor_b32 s4, exec_lo, s4
; %bb.460:
	v_bfe_u32 v5, v23, 20, 1
	s_delay_alu instid0(VALU_DEP_1) | instskip(NEXT) | instid1(VALU_DEP_1)
	v_add3_u32 v5, v23, v5, 0x407ffff
	v_and_b32_e32 v6, 0xff00000, v5
	v_lshrrev_b32_e32 v5, 20, v5
	s_delay_alu instid0(VALU_DEP_2) | instskip(NEXT) | instid1(VALU_DEP_2)
	v_cmp_ne_u32_e32 vcc_lo, 0x7f00000, v6
	v_cndmask_b32_e32 v5, 0x7e, v5, vcc_lo
; %bb.461:
	s_and_not1_saveexec_b32 s4, s4
; %bb.462:
	v_add_f32_e64 v5, 0x46800000, |v23|
; %bb.463:
	s_or_b32 exec_lo, exec_lo, s4
                                        ; implicit-def: $vgpr6
.LBB21_464:
	s_and_not1_saveexec_b32 s3, s3
; %bb.465:
	v_mov_b32_e32 v5, 0x7f
	v_cmp_lt_u32_e32 vcc_lo, 0x7f800000, v6
	s_delay_alu instid0(VALU_DEP_2)
	v_cndmask_b32_e32 v5, 0x7e, v5, vcc_lo
; %bb.466:
	s_or_b32 exec_lo, exec_lo, s3
	v_lshrrev_b32_e32 v6, 24, v23
	s_delay_alu instid0(VALU_DEP_1)
	v_and_or_b32 v5, 0x80, v6, v5
	global_store_b8 v[1:2], v5, off
.LBB21_467:
	s_mov_b32 s3, 0
.LBB21_468:
	s_delay_alu instid0(SALU_CYCLE_1)
	s_and_not1_b32 vcc_lo, exec_lo, s3
	s_cbranch_vccnz .LBB21_478
; %bb.469:
	v_and_b32_e32 v6, 0x7fffffff, v23
	s_mov_b32 s3, exec_lo
                                        ; implicit-def: $vgpr5
	s_delay_alu instid0(VALU_DEP_1)
	v_cmpx_gt_u32_e32 0x47800000, v6
	s_xor_b32 s3, exec_lo, s3
	s_cbranch_execz .LBB21_475
; %bb.470:
	s_mov_b32 s4, exec_lo
                                        ; implicit-def: $vgpr5
	v_cmpx_lt_u32_e32 0x387fffff, v6
	s_xor_b32 s4, exec_lo, s4
; %bb.471:
	v_bfe_u32 v5, v23, 21, 1
	s_delay_alu instid0(VALU_DEP_1) | instskip(NEXT) | instid1(VALU_DEP_1)
	v_add3_u32 v5, v23, v5, 0x80fffff
	v_lshrrev_b32_e32 v5, 21, v5
; %bb.472:
	s_and_not1_saveexec_b32 s4, s4
; %bb.473:
	v_add_f32_e64 v5, 0x43000000, |v23|
; %bb.474:
	s_or_b32 exec_lo, exec_lo, s4
                                        ; implicit-def: $vgpr6
.LBB21_475:
	s_and_not1_saveexec_b32 s3, s3
; %bb.476:
	v_mov_b32_e32 v5, 0x7f
	v_cmp_lt_u32_e32 vcc_lo, 0x7f800000, v6
	s_delay_alu instid0(VALU_DEP_2)
	v_cndmask_b32_e32 v5, 0x7c, v5, vcc_lo
; %bb.477:
	s_or_b32 exec_lo, exec_lo, s3
	v_lshrrev_b32_e32 v6, 24, v23
	s_delay_alu instid0(VALU_DEP_1)
	v_and_or_b32 v5, 0x80, v6, v5
	global_store_b8 v[1:2], v5, off
.LBB21_478:
	s_mov_b32 s3, 0
	s_mov_b32 s4, -1
.LBB21_479:
	s_and_not1_b32 vcc_lo, exec_lo, s3
	s_mov_b32 s3, 0
	s_cbranch_vccnz .LBB21_486
; %bb.480:
	v_cmp_lt_i16_e32 vcc_lo, 14, v4
	s_mov_b32 s3, -1
	s_cbranch_vccz .LBB21_484
; %bb.481:
	v_cmp_eq_u16_e32 vcc_lo, 15, v4
	s_mov_b32 s0, -1
	s_cbranch_vccz .LBB21_483
; %bb.482:
	v_bfe_u32 v5, v23, 16, 1
	v_cmp_o_f32_e32 vcc_lo, v23, v23
	s_mov_b32 s0, 0
	s_mov_b32 s4, -1
	s_delay_alu instid0(VALU_DEP_2) | instskip(NEXT) | instid1(VALU_DEP_1)
	v_add3_u32 v5, v23, v5, 0x7fff
	v_lshrrev_b32_e32 v5, 16, v5
	s_delay_alu instid0(VALU_DEP_1)
	v_cndmask_b32_e32 v5, 0x7fc0, v5, vcc_lo
	global_store_b16 v[1:2], v5, off
.LBB21_483:
	s_mov_b32 s3, 0
.LBB21_484:
	s_delay_alu instid0(SALU_CYCLE_1)
	s_and_b32 vcc_lo, exec_lo, s3
	s_mov_b32 s3, 0
	s_cbranch_vccz .LBB21_486
; %bb.485:
	v_cmp_ne_u16_e64 s0, 11, v4
	s_mov_b32 s3, -1
.LBB21_486:
	s_delay_alu instid0(VALU_DEP_1)
	s_and_b32 vcc_lo, exec_lo, s0
	s_cbranch_vccnz .LBB21_805
; %bb.487:
	s_and_not1_b32 vcc_lo, exec_lo, s3
	s_cbranch_vccnz .LBB21_489
.LBB21_488:
	v_cmp_neq_f32_e32 vcc_lo, 0, v23
	s_mov_b32 s4, -1
	v_cndmask_b32_e64 v5, 0, 1, vcc_lo
	global_store_b8 v[1:2], v5, off
.LBB21_489:
.LBB21_490:
	s_and_not1_b32 vcc_lo, exec_lo, s4
	s_cbranch_vccnz .LBB21_609
.LBB21_491:
	v_add_nc_u32_e32 v1, s2, v3
	v_cmp_gt_i16_e32 vcc_lo, 11, v4
	s_delay_alu instid0(VALU_DEP_2) | instskip(SKIP_1) | instid1(VALU_DEP_1)
	v_ashrrev_i32_e32 v3, 31, v1
	v_add_co_u32 v2, s0, s16, v1
	v_add_co_ci_u32_e64 v3, s0, s17, v3, s0
	s_cbranch_vccnz .LBB21_655
; %bb.492:
	v_cmp_lt_i16_e32 vcc_lo, 25, v4
	s_mov_b32 s3, -1
	s_mov_b32 s2, 0
	s_mov_b32 s0, 0
	s_cbranch_vccz .LBB21_525
; %bb.493:
	v_cmp_lt_i16_e32 vcc_lo, 28, v4
	s_cbranch_vccz .LBB21_509
; %bb.494:
	v_cmp_lt_i16_e32 vcc_lo, 43, v4
	;; [unrolled: 3-line block ×3, first 2 shown]
	s_cbranch_vccz .LBB21_499
; %bb.496:
	v_cmp_eq_u16_e32 vcc_lo, 46, v4
	s_mov_b32 s0, -1
	s_cbranch_vccz .LBB21_498
; %bb.497:
	v_bfe_u32 v1, v0, 16, 1
	v_cmp_o_f32_e32 vcc_lo, v0, v0
	s_mov_b32 s0, 0
	s_delay_alu instid0(VALU_DEP_2) | instskip(NEXT) | instid1(VALU_DEP_1)
	v_add3_u32 v1, v0, v1, 0x7fff
	v_lshrrev_b32_e32 v1, 16, v1
	s_delay_alu instid0(VALU_DEP_1)
	v_cndmask_b32_e32 v1, 0x7fc0, v1, vcc_lo
	global_store_b32 v[2:3], v1, off
.LBB21_498:
	s_mov_b32 s3, 0
.LBB21_499:
	s_delay_alu instid0(SALU_CYCLE_1)
	s_and_b32 vcc_lo, exec_lo, s3
	s_cbranch_vccz .LBB21_504
; %bb.500:
	v_cmp_eq_u16_e32 vcc_lo, 44, v4
	s_mov_b32 s0, -1
	s_cbranch_vccz .LBB21_504
; %bb.501:
	v_bfe_u32 v5, v0, 23, 8
	v_mov_b32_e32 v1, 0xff
	s_mov_b32 s3, exec_lo
	s_delay_alu instid0(VALU_DEP_2)
	v_cmpx_ne_u32_e32 0xff, v5
; %bb.502:
	v_and_b32_e32 v1, 0x400000, v0
	v_and_or_b32 v5, 0x3fffff, v0, v5
	s_delay_alu instid0(VALU_DEP_2) | instskip(NEXT) | instid1(VALU_DEP_2)
	v_cmp_ne_u32_e32 vcc_lo, 0, v1
	v_cmp_ne_u32_e64 s0, 0, v5
	v_lshrrev_b32_e32 v1, 23, v0
	s_delay_alu instid0(VALU_DEP_2) | instskip(NEXT) | instid1(SALU_CYCLE_1)
	s_and_b32 s0, vcc_lo, s0
	v_cndmask_b32_e64 v5, 0, 1, s0
	s_delay_alu instid0(VALU_DEP_1)
	v_add_nc_u32_e32 v1, v1, v5
; %bb.503:
	s_or_b32 exec_lo, exec_lo, s3
	s_mov_b32 s0, 0
	global_store_b8 v[2:3], v1, off
.LBB21_504:
	s_mov_b32 s3, 0
.LBB21_505:
	s_delay_alu instid0(SALU_CYCLE_1)
	s_and_b32 vcc_lo, exec_lo, s3
	s_cbranch_vccz .LBB21_508
; %bb.506:
	v_cmp_eq_u16_e32 vcc_lo, 29, v4
	s_mov_b32 s0, -1
	s_cbranch_vccz .LBB21_508
; %bb.507:
	v_trunc_f32_e32 v1, v0
	s_mov_b32 s0, 0
	s_delay_alu instid0(VALU_DEP_1) | instskip(NEXT) | instid1(VALU_DEP_1)
	v_mul_f32_e32 v5, 0x2f800000, v1
	v_floor_f32_e32 v5, v5
	s_delay_alu instid0(VALU_DEP_1) | instskip(SKIP_1) | instid1(VALU_DEP_2)
	v_fmamk_f32 v1, v5, 0xcf800000, v1
	v_cvt_u32_f32_e32 v6, v5
	v_cvt_u32_f32_e32 v5, v1
	global_store_b64 v[2:3], v[5:6], off
.LBB21_508:
	s_mov_b32 s3, 0
.LBB21_509:
	s_delay_alu instid0(SALU_CYCLE_1)
	s_and_b32 vcc_lo, exec_lo, s3
	s_cbranch_vccz .LBB21_524
; %bb.510:
	v_cmp_gt_i16_e32 vcc_lo, 27, v4
	s_mov_b32 s3, -1
	s_cbranch_vccnz .LBB21_516
; %bb.511:
	v_cmp_lt_i16_e32 vcc_lo, 27, v4
	v_cvt_u32_f32_e32 v1, v0
	s_cbranch_vccz .LBB21_513
; %bb.512:
	s_mov_b32 s3, 0
	global_store_b32 v[2:3], v1, off
.LBB21_513:
	s_and_not1_b32 vcc_lo, exec_lo, s3
	s_cbranch_vccnz .LBB21_515
; %bb.514:
	global_store_b16 v[2:3], v1, off
.LBB21_515:
	s_mov_b32 s3, 0
.LBB21_516:
	s_delay_alu instid0(SALU_CYCLE_1)
	s_and_not1_b32 vcc_lo, exec_lo, s3
	s_cbranch_vccnz .LBB21_524
; %bb.517:
	v_and_b32_e32 v1, 0x7fffffff, v0
	v_mov_b32_e32 v5, 0x80
	s_mov_b32 s3, exec_lo
	s_delay_alu instid0(VALU_DEP_2)
	v_cmpx_gt_u32_e32 0x43800000, v1
	s_cbranch_execz .LBB21_523
; %bb.518:
	v_cmp_lt_u32_e32 vcc_lo, 0x3bffffff, v1
	s_mov_b32 s4, 0
                                        ; implicit-def: $vgpr1
	s_and_saveexec_b32 s5, vcc_lo
	s_delay_alu instid0(SALU_CYCLE_1)
	s_xor_b32 s5, exec_lo, s5
	s_cbranch_execz .LBB21_936
; %bb.519:
	v_bfe_u32 v1, v0, 20, 1
	s_mov_b32 s4, exec_lo
	s_delay_alu instid0(VALU_DEP_1) | instskip(NEXT) | instid1(VALU_DEP_1)
	v_add3_u32 v1, v0, v1, 0x487ffff
	v_lshrrev_b32_e32 v1, 20, v1
	s_or_saveexec_b32 s5, s5
                                        ; implicit-def: $sgpr6
	s_delay_alu instid0(SALU_CYCLE_1)
	s_xor_b32 exec_lo, exec_lo, s5
	s_cbranch_execnz .LBB21_937
.LBB21_520:
	s_or_b32 exec_lo, exec_lo, s5
	v_mov_b32_e32 v5, s6
	s_and_saveexec_b32 s5, s4
.LBB21_521:
	v_lshrrev_b32_e32 v5, 24, v0
	s_delay_alu instid0(VALU_DEP_1)
	v_and_or_b32 v5, 0x80, v5, v1
.LBB21_522:
	s_or_b32 exec_lo, exec_lo, s5
.LBB21_523:
	s_delay_alu instid0(SALU_CYCLE_1)
	s_or_b32 exec_lo, exec_lo, s3
	global_store_b8 v[2:3], v5, off
.LBB21_524:
	s_mov_b32 s3, 0
.LBB21_525:
	s_delay_alu instid0(SALU_CYCLE_1)
	s_and_b32 vcc_lo, exec_lo, s3
	s_cbranch_vccz .LBB21_565
; %bb.526:
	v_cmp_lt_i16_e32 vcc_lo, 22, v4
	s_mov_b32 s2, -1
	s_cbranch_vccz .LBB21_558
; %bb.527:
	v_cmp_gt_i16_e32 vcc_lo, 24, v4
	s_cbranch_vccnz .LBB21_547
; %bb.528:
	v_cmp_lt_i16_e32 vcc_lo, 24, v4
	s_cbranch_vccz .LBB21_536
; %bb.529:
	v_and_b32_e32 v1, 0x7fffffff, v0
	v_mov_b32_e32 v5, 0x80
	s_mov_b32 s2, exec_lo
	s_delay_alu instid0(VALU_DEP_2)
	v_cmpx_gt_u32_e32 0x47800000, v1
	s_cbranch_execz .LBB21_535
; %bb.530:
	v_cmp_lt_u32_e32 vcc_lo, 0x37ffffff, v1
	s_mov_b32 s3, 0
                                        ; implicit-def: $vgpr1
	s_and_saveexec_b32 s4, vcc_lo
	s_delay_alu instid0(SALU_CYCLE_1)
	s_xor_b32 s4, exec_lo, s4
	s_cbranch_execz .LBB21_944
; %bb.531:
	v_bfe_u32 v1, v0, 21, 1
	s_mov_b32 s3, exec_lo
	s_delay_alu instid0(VALU_DEP_1) | instskip(NEXT) | instid1(VALU_DEP_1)
	v_add3_u32 v1, v0, v1, 0x88fffff
	v_lshrrev_b32_e32 v1, 21, v1
	s_or_saveexec_b32 s4, s4
                                        ; implicit-def: $sgpr5
	s_delay_alu instid0(SALU_CYCLE_1)
	s_xor_b32 exec_lo, exec_lo, s4
	s_cbranch_execnz .LBB21_945
.LBB21_532:
	s_or_b32 exec_lo, exec_lo, s4
	v_mov_b32_e32 v5, s5
	s_and_saveexec_b32 s4, s3
.LBB21_533:
	v_lshrrev_b32_e32 v5, 24, v0
	s_delay_alu instid0(VALU_DEP_1)
	v_and_or_b32 v5, 0x80, v5, v1
.LBB21_534:
	s_or_b32 exec_lo, exec_lo, s4
.LBB21_535:
	s_delay_alu instid0(SALU_CYCLE_1)
	s_or_b32 exec_lo, exec_lo, s2
	s_mov_b32 s2, 0
	global_store_b8 v[2:3], v5, off
.LBB21_536:
	s_and_b32 vcc_lo, exec_lo, s2
	s_cbranch_vccz .LBB21_546
; %bb.537:
	v_and_b32_e32 v5, 0x7fffffff, v0
	s_mov_b32 s2, exec_lo
                                        ; implicit-def: $vgpr1
	s_delay_alu instid0(VALU_DEP_1)
	v_cmpx_gt_u32_e32 0x43f00000, v5
	s_xor_b32 s2, exec_lo, s2
	s_cbranch_execz .LBB21_543
; %bb.538:
	s_mov_b32 s3, exec_lo
                                        ; implicit-def: $vgpr1
	v_cmpx_lt_u32_e32 0x3c7fffff, v5
	s_xor_b32 s3, exec_lo, s3
; %bb.539:
	v_bfe_u32 v1, v0, 20, 1
	s_delay_alu instid0(VALU_DEP_1) | instskip(NEXT) | instid1(VALU_DEP_1)
	v_add3_u32 v1, v0, v1, 0x407ffff
	v_and_b32_e32 v5, 0xff00000, v1
	v_lshrrev_b32_e32 v1, 20, v1
	s_delay_alu instid0(VALU_DEP_2) | instskip(NEXT) | instid1(VALU_DEP_2)
	v_cmp_ne_u32_e32 vcc_lo, 0x7f00000, v5
	v_cndmask_b32_e32 v1, 0x7e, v1, vcc_lo
; %bb.540:
	s_and_not1_saveexec_b32 s3, s3
; %bb.541:
	v_add_f32_e64 v1, 0x46800000, |v0|
; %bb.542:
	s_or_b32 exec_lo, exec_lo, s3
                                        ; implicit-def: $vgpr5
.LBB21_543:
	s_and_not1_saveexec_b32 s2, s2
; %bb.544:
	v_mov_b32_e32 v1, 0x7f
	v_cmp_lt_u32_e32 vcc_lo, 0x7f800000, v5
	s_delay_alu instid0(VALU_DEP_2)
	v_cndmask_b32_e32 v1, 0x7e, v1, vcc_lo
; %bb.545:
	s_or_b32 exec_lo, exec_lo, s2
	v_lshrrev_b32_e32 v5, 24, v0
	s_delay_alu instid0(VALU_DEP_1)
	v_and_or_b32 v1, 0x80, v5, v1
	global_store_b8 v[2:3], v1, off
.LBB21_546:
	s_mov_b32 s2, 0
.LBB21_547:
	s_delay_alu instid0(SALU_CYCLE_1)
	s_and_not1_b32 vcc_lo, exec_lo, s2
	s_cbranch_vccnz .LBB21_557
; %bb.548:
	v_and_b32_e32 v5, 0x7fffffff, v0
	s_mov_b32 s2, exec_lo
                                        ; implicit-def: $vgpr1
	s_delay_alu instid0(VALU_DEP_1)
	v_cmpx_gt_u32_e32 0x47800000, v5
	s_xor_b32 s2, exec_lo, s2
	s_cbranch_execz .LBB21_554
; %bb.549:
	s_mov_b32 s3, exec_lo
                                        ; implicit-def: $vgpr1
	v_cmpx_lt_u32_e32 0x387fffff, v5
	s_xor_b32 s3, exec_lo, s3
; %bb.550:
	v_bfe_u32 v1, v0, 21, 1
	s_delay_alu instid0(VALU_DEP_1) | instskip(NEXT) | instid1(VALU_DEP_1)
	v_add3_u32 v1, v0, v1, 0x80fffff
	v_lshrrev_b32_e32 v1, 21, v1
; %bb.551:
	s_and_not1_saveexec_b32 s3, s3
; %bb.552:
	v_add_f32_e64 v1, 0x43000000, |v0|
; %bb.553:
	s_or_b32 exec_lo, exec_lo, s3
                                        ; implicit-def: $vgpr5
.LBB21_554:
	s_and_not1_saveexec_b32 s2, s2
; %bb.555:
	v_mov_b32_e32 v1, 0x7f
	v_cmp_lt_u32_e32 vcc_lo, 0x7f800000, v5
	s_delay_alu instid0(VALU_DEP_2)
	v_cndmask_b32_e32 v1, 0x7c, v1, vcc_lo
; %bb.556:
	s_or_b32 exec_lo, exec_lo, s2
	v_lshrrev_b32_e32 v5, 24, v0
	s_delay_alu instid0(VALU_DEP_1)
	v_and_or_b32 v1, 0x80, v5, v1
	global_store_b8 v[2:3], v1, off
.LBB21_557:
	s_mov_b32 s2, 0
.LBB21_558:
	s_delay_alu instid0(SALU_CYCLE_1)
	s_and_not1_b32 vcc_lo, exec_lo, s2
	s_mov_b32 s2, 0
	s_cbranch_vccnz .LBB21_565
; %bb.559:
	v_cmp_lt_i16_e32 vcc_lo, 14, v4
	s_mov_b32 s2, -1
	s_cbranch_vccz .LBB21_563
; %bb.560:
	v_cmp_eq_u16_e32 vcc_lo, 15, v4
	s_mov_b32 s0, -1
	s_cbranch_vccz .LBB21_562
; %bb.561:
	v_bfe_u32 v1, v0, 16, 1
	v_cmp_o_f32_e32 vcc_lo, v0, v0
	s_mov_b32 s0, 0
	s_delay_alu instid0(VALU_DEP_2) | instskip(NEXT) | instid1(VALU_DEP_1)
	v_add3_u32 v1, v0, v1, 0x7fff
	v_lshrrev_b32_e32 v1, 16, v1
	s_delay_alu instid0(VALU_DEP_1)
	v_cndmask_b32_e32 v1, 0x7fc0, v1, vcc_lo
	global_store_b16 v[2:3], v1, off
.LBB21_562:
	s_mov_b32 s2, 0
.LBB21_563:
	s_delay_alu instid0(SALU_CYCLE_1)
	s_and_b32 vcc_lo, exec_lo, s2
	s_mov_b32 s2, 0
	s_cbranch_vccz .LBB21_565
; %bb.564:
	v_cmp_ne_u16_e64 s0, 11, v4
	s_mov_b32 s2, -1
.LBB21_565:
	s_delay_alu instid0(VALU_DEP_1)
	s_and_b32 vcc_lo, exec_lo, s0
	s_cbranch_vccnz .LBB21_940
.LBB21_566:
	s_mov_b32 s0, 0
	s_branch .LBB21_610
.LBB21_567:
	s_mov_b32 s1, 0
	s_mov_b32 s0, s20
	s_cbranch_execnz .LBB21_744
.LBB21_568:
	s_and_not1_b32 vcc_lo, exec_lo, s1
	s_cbranch_vccnz .LBB21_782
.LBB21_569:
	v_add_nc_u32_e32 v26, 0x80, v26
	s_mov_b32 s1, -1
	s_branch .LBB21_783
.LBB21_570:
	s_mov_b32 s4, 0
	s_cbranch_execz .LBB21_490
; %bb.571:
	v_cmp_gt_i16_e32 vcc_lo, 5, v4
	s_mov_b32 s0, -1
	s_cbranch_vccnz .LBB21_592
; %bb.572:
	v_cmp_gt_i16_e32 vcc_lo, 8, v4
	s_cbranch_vccnz .LBB21_582
; %bb.573:
	v_cmp_gt_i16_e32 vcc_lo, 9, v4
	s_cbranch_vccnz .LBB21_579
; %bb.574:
	v_cmp_lt_i16_e32 vcc_lo, 9, v4
	s_cbranch_vccz .LBB21_576
; %bb.575:
	v_cvt_f64_f32_e32 v[5:6], v23
	v_mov_b32_e32 v7, 0
	s_mov_b32 s0, 0
	s_delay_alu instid0(VALU_DEP_1)
	v_mov_b32_e32 v8, v7
	global_store_b128 v[1:2], v[5:8], off
.LBB21_576:
	s_and_not1_b32 vcc_lo, exec_lo, s0
	s_cbranch_vccnz .LBB21_578
; %bb.577:
	v_mov_b32_e32 v24, 0
	global_store_b64 v[1:2], v[23:24], off
.LBB21_578:
	s_mov_b32 s0, 0
.LBB21_579:
	s_delay_alu instid0(SALU_CYCLE_1)
	s_and_not1_b32 vcc_lo, exec_lo, s0
	s_cbranch_vccnz .LBB21_581
; %bb.580:
	v_cvt_f16_f32_e32 v5, v23
	s_delay_alu instid0(VALU_DEP_1)
	v_and_b32_e32 v5, 0xffff, v5
	global_store_b32 v[1:2], v5, off
.LBB21_581:
	s_mov_b32 s0, 0
.LBB21_582:
	s_delay_alu instid0(SALU_CYCLE_1)
	s_and_not1_b32 vcc_lo, exec_lo, s0
	s_cbranch_vccnz .LBB21_591
; %bb.583:
	v_cmp_gt_i16_e32 vcc_lo, 6, v4
	s_mov_b32 s0, -1
	s_cbranch_vccnz .LBB21_589
; %bb.584:
	v_cmp_lt_i16_e32 vcc_lo, 6, v4
	s_cbranch_vccz .LBB21_586
; %bb.585:
	v_cvt_f64_f32_e32 v[5:6], v23
	s_mov_b32 s0, 0
	global_store_b64 v[1:2], v[5:6], off
.LBB21_586:
	s_and_not1_b32 vcc_lo, exec_lo, s0
	s_cbranch_vccnz .LBB21_588
; %bb.587:
	global_store_b32 v[1:2], v23, off
.LBB21_588:
	s_mov_b32 s0, 0
.LBB21_589:
	s_delay_alu instid0(SALU_CYCLE_1)
	s_and_not1_b32 vcc_lo, exec_lo, s0
	s_cbranch_vccnz .LBB21_591
; %bb.590:
	v_cvt_f16_f32_e32 v5, v23
	global_store_b16 v[1:2], v5, off
.LBB21_591:
	s_mov_b32 s0, 0
.LBB21_592:
	s_delay_alu instid0(SALU_CYCLE_1)
	s_and_not1_b32 vcc_lo, exec_lo, s0
	s_cbranch_vccnz .LBB21_608
; %bb.593:
	v_cmp_gt_i16_e32 vcc_lo, 2, v4
	s_mov_b32 s0, -1
	s_cbranch_vccnz .LBB21_603
; %bb.594:
	v_cmp_gt_i16_e32 vcc_lo, 3, v4
	s_cbranch_vccnz .LBB21_600
; %bb.595:
	v_cmp_lt_i16_e32 vcc_lo, 3, v4
	s_cbranch_vccz .LBB21_597
; %bb.596:
	v_trunc_f32_e32 v5, v23
	s_mov_b32 s0, 0
	s_delay_alu instid0(VALU_DEP_1) | instskip(SKIP_1) | instid1(VALU_DEP_2)
	v_mul_f32_e64 v6, 0x2f800000, |v5|
	v_ashrrev_i32_e32 v8, 31, v5
	v_floor_f32_e32 v6, v6
	s_delay_alu instid0(VALU_DEP_1) | instskip(SKIP_1) | instid1(VALU_DEP_2)
	v_fma_f32 v7, 0xcf800000, v6, |v5|
	v_cvt_u32_f32_e32 v6, v6
	v_cvt_u32_f32_e32 v5, v7
	s_delay_alu instid0(VALU_DEP_2) | instskip(NEXT) | instid1(VALU_DEP_2)
	v_xor_b32_e32 v6, v6, v8
	v_xor_b32_e32 v5, v5, v8
	s_delay_alu instid0(VALU_DEP_1) | instskip(NEXT) | instid1(VALU_DEP_3)
	v_sub_co_u32 v5, vcc_lo, v5, v8
	v_sub_co_ci_u32_e32 v6, vcc_lo, v6, v8, vcc_lo
	global_store_b64 v[1:2], v[5:6], off
.LBB21_597:
	s_and_not1_b32 vcc_lo, exec_lo, s0
	s_cbranch_vccnz .LBB21_599
; %bb.598:
	v_cvt_i32_f32_e32 v5, v23
	global_store_b32 v[1:2], v5, off
.LBB21_599:
	s_mov_b32 s0, 0
.LBB21_600:
	s_delay_alu instid0(SALU_CYCLE_1)
	s_and_not1_b32 vcc_lo, exec_lo, s0
	s_cbranch_vccnz .LBB21_602
; %bb.601:
	v_cvt_i32_f32_e32 v5, v23
	global_store_b16 v[1:2], v5, off
.LBB21_602:
	s_mov_b32 s0, 0
.LBB21_603:
	s_delay_alu instid0(SALU_CYCLE_1)
	s_and_not1_b32 vcc_lo, exec_lo, s0
	s_cbranch_vccnz .LBB21_608
; %bb.604:
	v_cmp_lt_i16_e32 vcc_lo, 0, v4
	s_mov_b32 s0, -1
	s_cbranch_vccz .LBB21_606
; %bb.605:
	v_cvt_i32_f32_e32 v5, v23
	s_mov_b32 s0, 0
	global_store_b8 v[1:2], v5, off
.LBB21_606:
	s_and_not1_b32 vcc_lo, exec_lo, s0
	s_cbranch_vccnz .LBB21_608
; %bb.607:
	v_trunc_f32_e32 v5, v23
	s_delay_alu instid0(VALU_DEP_1) | instskip(NEXT) | instid1(VALU_DEP_1)
	v_mul_f32_e64 v6, 0x2f800000, |v5|
	v_floor_f32_e32 v6, v6
	s_delay_alu instid0(VALU_DEP_1) | instskip(SKIP_1) | instid1(VALU_DEP_2)
	v_fma_f32 v6, 0xcf800000, v6, |v5|
	v_ashrrev_i32_e32 v5, 31, v5
	v_cvt_u32_f32_e32 v6, v6
	s_delay_alu instid0(VALU_DEP_1) | instskip(NEXT) | instid1(VALU_DEP_1)
	v_xor_b32_e32 v6, v6, v5
	v_sub_nc_u32_e32 v5, v6, v5
	global_store_b8 v[1:2], v5, off
.LBB21_608:
	s_branch .LBB21_491
.LBB21_609:
	s_mov_b32 s0, 0
	s_mov_b32 s2, 0
                                        ; implicit-def: $vgpr4
                                        ; implicit-def: $vgpr2_vgpr3
.LBB21_610:
	s_and_not1_b32 s3, s20, exec_lo
	s_and_b32 s1, s1, exec_lo
	s_and_b32 s0, s0, exec_lo
	;; [unrolled: 1-line block ×3, first 2 shown]
	s_or_b32 s20, s3, s1
.LBB21_611:
	s_or_b32 exec_lo, exec_lo, s15
	s_and_saveexec_b32 s1, s20
	s_cbranch_execz .LBB21_614
; %bb.612:
	; divergent unreachable
	s_or_b32 exec_lo, exec_lo, s1
	s_and_saveexec_b32 s1, s14
	s_delay_alu instid0(SALU_CYCLE_1)
	s_xor_b32 s1, exec_lo, s1
	s_cbranch_execnz .LBB21_615
.LBB21_613:
	s_or_b32 exec_lo, exec_lo, s1
	s_and_saveexec_b32 s1, s0
	s_cbranch_execnz .LBB21_616
	s_branch .LBB21_653
.LBB21_614:
	s_or_b32 exec_lo, exec_lo, s1
	s_and_saveexec_b32 s1, s14
	s_delay_alu instid0(SALU_CYCLE_1)
	s_xor_b32 s1, exec_lo, s1
	s_cbranch_execz .LBB21_613
.LBB21_615:
	v_cmp_neq_f32_e32 vcc_lo, 0, v0
	v_cndmask_b32_e64 v1, 0, 1, vcc_lo
	global_store_b8 v[2:3], v1, off
	s_or_b32 exec_lo, exec_lo, s1
	s_and_saveexec_b32 s1, s0
	s_cbranch_execz .LBB21_653
.LBB21_616:
	v_cmp_gt_i16_e32 vcc_lo, 5, v4
	s_mov_b32 s0, -1
	s_cbranch_vccnz .LBB21_637
; %bb.617:
	v_cmp_gt_i16_e32 vcc_lo, 8, v4
	s_cbranch_vccnz .LBB21_627
; %bb.618:
	v_cmp_gt_i16_e32 vcc_lo, 9, v4
	s_cbranch_vccnz .LBB21_624
; %bb.619:
	v_cmp_lt_i16_e32 vcc_lo, 9, v4
	s_cbranch_vccz .LBB21_621
; %bb.620:
	v_cvt_f64_f32_e32 v[5:6], v0
	v_mov_b32_e32 v7, 0
	s_mov_b32 s0, 0
	s_delay_alu instid0(VALU_DEP_1)
	v_mov_b32_e32 v8, v7
	global_store_b128 v[2:3], v[5:8], off
.LBB21_621:
	s_and_not1_b32 vcc_lo, exec_lo, s0
	s_cbranch_vccnz .LBB21_623
; %bb.622:
	v_mov_b32_e32 v1, 0
	global_store_b64 v[2:3], v[0:1], off
.LBB21_623:
	s_mov_b32 s0, 0
.LBB21_624:
	s_delay_alu instid0(SALU_CYCLE_1)
	s_and_not1_b32 vcc_lo, exec_lo, s0
	s_cbranch_vccnz .LBB21_626
; %bb.625:
	v_cvt_f16_f32_e32 v1, v0
	s_delay_alu instid0(VALU_DEP_1)
	v_and_b32_e32 v1, 0xffff, v1
	global_store_b32 v[2:3], v1, off
.LBB21_626:
	s_mov_b32 s0, 0
.LBB21_627:
	s_delay_alu instid0(SALU_CYCLE_1)
	s_and_not1_b32 vcc_lo, exec_lo, s0
	s_cbranch_vccnz .LBB21_636
; %bb.628:
	v_cmp_gt_i16_e32 vcc_lo, 6, v4
	s_mov_b32 s0, -1
	s_cbranch_vccnz .LBB21_634
; %bb.629:
	v_cmp_lt_i16_e32 vcc_lo, 6, v4
	s_cbranch_vccz .LBB21_631
; %bb.630:
	v_cvt_f64_f32_e32 v[5:6], v0
	s_mov_b32 s0, 0
	global_store_b64 v[2:3], v[5:6], off
.LBB21_631:
	s_and_not1_b32 vcc_lo, exec_lo, s0
	s_cbranch_vccnz .LBB21_633
; %bb.632:
	global_store_b32 v[2:3], v0, off
.LBB21_633:
	s_mov_b32 s0, 0
.LBB21_634:
	s_delay_alu instid0(SALU_CYCLE_1)
	s_and_not1_b32 vcc_lo, exec_lo, s0
	s_cbranch_vccnz .LBB21_636
; %bb.635:
	v_cvt_f16_f32_e32 v1, v0
	global_store_b16 v[2:3], v1, off
.LBB21_636:
	s_mov_b32 s0, 0
.LBB21_637:
	s_delay_alu instid0(SALU_CYCLE_1)
	s_and_not1_b32 vcc_lo, exec_lo, s0
	s_cbranch_vccnz .LBB21_653
; %bb.638:
	v_cmp_gt_i16_e32 vcc_lo, 2, v4
	s_mov_b32 s0, -1
	s_cbranch_vccnz .LBB21_648
; %bb.639:
	v_cmp_gt_i16_e32 vcc_lo, 3, v4
	s_cbranch_vccnz .LBB21_645
; %bb.640:
	v_cmp_lt_i16_e32 vcc_lo, 3, v4
	s_cbranch_vccz .LBB21_642
; %bb.641:
	v_trunc_f32_e32 v1, v0
	s_mov_b32 s0, 0
	s_delay_alu instid0(VALU_DEP_1) | instskip(NEXT) | instid1(VALU_DEP_1)
	v_mul_f32_e64 v5, 0x2f800000, |v1|
	v_floor_f32_e32 v5, v5
	s_delay_alu instid0(VALU_DEP_1) | instskip(SKIP_2) | instid1(VALU_DEP_3)
	v_fma_f32 v6, 0xcf800000, v5, |v1|
	v_ashrrev_i32_e32 v1, 31, v1
	v_cvt_u32_f32_e32 v5, v5
	v_cvt_u32_f32_e32 v6, v6
	s_delay_alu instid0(VALU_DEP_2) | instskip(NEXT) | instid1(VALU_DEP_2)
	v_xor_b32_e32 v7, v5, v1
	v_xor_b32_e32 v6, v6, v1
	s_delay_alu instid0(VALU_DEP_1) | instskip(NEXT) | instid1(VALU_DEP_3)
	v_sub_co_u32 v5, vcc_lo, v6, v1
	v_sub_co_ci_u32_e32 v6, vcc_lo, v7, v1, vcc_lo
	global_store_b64 v[2:3], v[5:6], off
.LBB21_642:
	s_and_not1_b32 vcc_lo, exec_lo, s0
	s_cbranch_vccnz .LBB21_644
; %bb.643:
	v_cvt_i32_f32_e32 v1, v0
	global_store_b32 v[2:3], v1, off
.LBB21_644:
	s_mov_b32 s0, 0
.LBB21_645:
	s_delay_alu instid0(SALU_CYCLE_1)
	s_and_not1_b32 vcc_lo, exec_lo, s0
	s_cbranch_vccnz .LBB21_647
; %bb.646:
	v_cvt_i32_f32_e32 v1, v0
	global_store_b16 v[2:3], v1, off
.LBB21_647:
	s_mov_b32 s0, 0
.LBB21_648:
	s_delay_alu instid0(SALU_CYCLE_1)
	s_and_not1_b32 vcc_lo, exec_lo, s0
	s_cbranch_vccnz .LBB21_653
; %bb.649:
	v_cmp_lt_i16_e32 vcc_lo, 0, v4
	s_mov_b32 s0, -1
	s_cbranch_vccz .LBB21_651
; %bb.650:
	v_cvt_i32_f32_e32 v1, v0
	s_mov_b32 s0, 0
	global_store_b8 v[2:3], v1, off
.LBB21_651:
	s_and_not1_b32 vcc_lo, exec_lo, s0
	s_cbranch_vccnz .LBB21_653
; %bb.652:
	v_trunc_f32_e32 v0, v0
	s_delay_alu instid0(VALU_DEP_1) | instskip(NEXT) | instid1(VALU_DEP_1)
	v_mul_f32_e64 v1, 0x2f800000, |v0|
	v_floor_f32_e32 v1, v1
	s_delay_alu instid0(VALU_DEP_1) | instskip(SKIP_1) | instid1(VALU_DEP_2)
	v_fma_f32 v1, 0xcf800000, v1, |v0|
	v_ashrrev_i32_e32 v0, 31, v0
	v_cvt_u32_f32_e32 v1, v1
	s_delay_alu instid0(VALU_DEP_1) | instskip(NEXT) | instid1(VALU_DEP_1)
	v_xor_b32_e32 v1, v1, v0
	v_sub_nc_u32_e32 v0, v1, v0
	global_store_b8 v[2:3], v0, off
	s_endpgm
.LBB21_653:
	s_endpgm
.LBB21_654:
	s_mov_b32 s2, -1
	s_mov_b32 s1, 0
	s_mov_b32 s0, s20
	s_branch .LBB21_702
.LBB21_655:
	s_mov_b32 s2, 0
	s_mov_b32 s0, -1
	s_branch .LBB21_610
.LBB21_656:
	s_mov_b32 s2, -1
	s_mov_b32 s1, 0
	s_mov_b32 s0, s20
	s_branch .LBB21_685
.LBB21_657:
	s_or_saveexec_b32 s4, s4
                                        ; implicit-def: $sgpr5
	s_delay_alu instid0(SALU_CYCLE_1)
	s_xor_b32 exec_lo, exec_lo, s4
	s_cbranch_execz .LBB21_204
.LBB21_658:
	v_add_f32_e64 v5, 0x46000000, |v25|
	s_and_not1_b32 s3, s3, exec_lo
	s_mov_b32 s5, 0
	s_delay_alu instid0(VALU_DEP_1) | instskip(NEXT) | instid1(VALU_DEP_1)
	v_and_b32_e32 v5, 0xff, v5
	v_cmp_ne_u32_e32 vcc_lo, 0, v5
	s_and_b32 s6, vcc_lo, exec_lo
	s_delay_alu instid0(SALU_CYCLE_1)
	s_or_b32 s3, s3, s6
	s_or_b32 exec_lo, exec_lo, s4
	v_mov_b32_e32 v6, s5
	s_and_saveexec_b32 s4, s3
	s_cbranch_execnz .LBB21_205
	s_branch .LBB21_206
.LBB21_659:
	s_cbranch_execnz .LBB21_668
; %bb.660:
	s_or_b32 s1, s20, exec_lo
	s_cbranch_execz .LBB21_252
	s_branch .LBB21_253
.LBB21_661:
	s_or_saveexec_b32 s3, s3
                                        ; implicit-def: $sgpr4
	s_delay_alu instid0(SALU_CYCLE_1)
	s_xor_b32 exec_lo, exec_lo, s3
	s_cbranch_execz .LBB21_37
.LBB21_662:
	v_add_f32_e64 v1, 0x46000000, |v0|
	s_and_not1_b32 s2, s2, exec_lo
	s_mov_b32 s4, 0
	s_delay_alu instid0(VALU_DEP_1) | instskip(NEXT) | instid1(VALU_DEP_1)
	v_and_b32_e32 v1, 0xff, v1
	v_cmp_ne_u32_e32 vcc_lo, 0, v1
	s_and_b32 s5, vcc_lo, exec_lo
	s_delay_alu instid0(SALU_CYCLE_1)
	s_or_b32 s2, s2, s5
	s_or_b32 exec_lo, exec_lo, s3
	v_mov_b32_e32 v5, s4
	s_and_saveexec_b32 s3, s2
	s_cbranch_execnz .LBB21_38
	s_branch .LBB21_39
.LBB21_663:
	s_mov_b32 s2, -1
	s_mov_b32 s1, 0
	s_mov_b32 s0, s20
	s_branch .LBB21_681
.LBB21_664:
	s_or_saveexec_b32 s3, s3
                                        ; implicit-def: $sgpr4
	s_delay_alu instid0(SALU_CYCLE_1)
	s_xor_b32 exec_lo, exec_lo, s3
	s_cbranch_execz .LBB21_217
.LBB21_665:
	v_add_f32_e64 v5, 0x42800000, |v25|
	s_and_not1_b32 s2, s2, exec_lo
	s_mov_b32 s4, 0
	s_delay_alu instid0(VALU_DEP_1) | instskip(NEXT) | instid1(VALU_DEP_1)
	v_and_b32_e32 v5, 0xff, v5
	v_cmp_ne_u32_e32 vcc_lo, 0, v5
	s_and_b32 s5, vcc_lo, exec_lo
	s_delay_alu instid0(SALU_CYCLE_1)
	s_or_b32 s2, s2, s5
	s_or_b32 exec_lo, exec_lo, s3
	v_mov_b32_e32 v6, s4
	s_and_saveexec_b32 s3, s2
	s_cbranch_execnz .LBB21_218
	s_branch .LBB21_219
.LBB21_666:
	s_or_saveexec_b32 s6, s6
                                        ; implicit-def: $sgpr7
	s_delay_alu instid0(SALU_CYCLE_1)
	s_xor_b32 exec_lo, exec_lo, s6
	s_cbranch_execz .LBB21_322
.LBB21_667:
	v_add_f32_e64 v5, 0x46000000, |v24|
	s_and_not1_b32 s5, s5, exec_lo
	s_mov_b32 s7, 0
	s_delay_alu instid0(VALU_DEP_1) | instskip(NEXT) | instid1(VALU_DEP_1)
	v_and_b32_e32 v5, 0xff, v5
	v_cmp_ne_u32_e32 vcc_lo, 0, v5
	s_and_b32 s8, vcc_lo, exec_lo
	s_delay_alu instid0(SALU_CYCLE_1)
	s_or_b32 s5, s5, s8
	s_or_b32 exec_lo, exec_lo, s6
	v_mov_b32_e32 v6, s7
	s_and_saveexec_b32 s6, s5
	s_cbranch_execnz .LBB21_323
	s_branch .LBB21_324
.LBB21_668:
	s_trap 2
	s_sendmsg_rtn_b32 s0, sendmsg(MSG_RTN_GET_DOORBELL)
	s_mov_b32 ttmp2, m0
	s_waitcnt lgkmcnt(0)
	s_and_b32 s0, s0, 0x3ff
	s_delay_alu instid0(SALU_CYCLE_1) | instskip(NEXT) | instid1(SALU_CYCLE_1)
	s_bitset1_b32 s0, 10
	s_mov_b32 m0, s0
	s_sendmsg sendmsg(MSG_INTERRUPT)
	s_mov_b32 m0, ttmp2
.LBB21_669:                             ; =>This Inner Loop Header: Depth=1
	s_sethalt 5
	s_branch .LBB21_669
.LBB21_670:
	s_cbranch_execnz .LBB21_803
; %bb.671:
	s_or_b32 s1, s1, exec_lo
	s_cbranch_execz .LBB21_370
	s_branch .LBB21_371
.LBB21_672:
	s_or_saveexec_b32 s3, s3
                                        ; implicit-def: $sgpr4
	s_delay_alu instid0(SALU_CYCLE_1)
	s_xor_b32 exec_lo, exec_lo, s3
	s_cbranch_execz .LBB21_49
.LBB21_673:
	v_add_f32_e64 v1, 0x42800000, |v0|
	s_and_not1_b32 s2, s2, exec_lo
	s_mov_b32 s4, 0
	s_delay_alu instid0(VALU_DEP_1) | instskip(NEXT) | instid1(VALU_DEP_1)
	v_and_b32_e32 v1, 0xff, v1
	v_cmp_ne_u32_e32 vcc_lo, 0, v1
	s_and_b32 s5, vcc_lo, exec_lo
	s_delay_alu instid0(SALU_CYCLE_1)
	s_or_b32 s2, s2, s5
	s_or_b32 exec_lo, exec_lo, s3
	v_mov_b32_e32 v5, s4
	s_and_saveexec_b32 s3, s2
	s_cbranch_execnz .LBB21_50
	s_branch .LBB21_51
.LBB21_674:
	s_mov_b32 s2, -1
	s_mov_b32 s1, 0
	s_mov_b32 s0, s20
.LBB21_675:
	s_and_b32 vcc_lo, exec_lo, s2
	s_cbranch_vccz .LBB21_680
; %bb.676:
	v_cmp_eq_u16_e32 vcc_lo, 44, v4
	s_mov_b32 s0, -1
	s_cbranch_vccz .LBB21_680
; %bb.677:
	v_bfe_u32 v5, v0, 23, 8
	v_mov_b32_e32 v1, 0xff
	s_mov_b32 s1, exec_lo
	s_delay_alu instid0(VALU_DEP_2)
	v_cmpx_ne_u32_e32 0xff, v5
; %bb.678:
	v_and_b32_e32 v1, 0x400000, v0
	v_and_or_b32 v5, 0x3fffff, v0, v5
	s_delay_alu instid0(VALU_DEP_2) | instskip(NEXT) | instid1(VALU_DEP_2)
	v_cmp_ne_u32_e32 vcc_lo, 0, v1
	v_cmp_ne_u32_e64 s0, 0, v5
	v_lshrrev_b32_e32 v1, 23, v0
	s_delay_alu instid0(VALU_DEP_2) | instskip(NEXT) | instid1(SALU_CYCLE_1)
	s_and_b32 s0, vcc_lo, s0
	v_cndmask_b32_e64 v5, 0, 1, s0
	s_delay_alu instid0(VALU_DEP_1)
	v_add_nc_u32_e32 v1, v1, v5
; %bb.679:
	s_or_b32 exec_lo, exec_lo, s1
	s_mov_b32 s1, -1
	s_mov_b32 s0, 0
	global_store_b8 v[2:3], v1, off
.LBB21_680:
	s_mov_b32 s2, 0
.LBB21_681:
	s_delay_alu instid0(SALU_CYCLE_1)
	s_and_b32 vcc_lo, exec_lo, s2
	s_cbranch_vccz .LBB21_684
; %bb.682:
	v_cmp_eq_u16_e32 vcc_lo, 29, v4
	s_mov_b32 s0, -1
	s_cbranch_vccz .LBB21_684
; %bb.683:
	v_trunc_f32_e32 v1, v0
	s_mov_b32 s1, -1
	s_mov_b32 s0, 0
	s_mov_b32 s2, 0
	s_delay_alu instid0(VALU_DEP_1) | instskip(NEXT) | instid1(VALU_DEP_1)
	v_mul_f32_e32 v5, 0x2f800000, v1
	v_floor_f32_e32 v5, v5
	s_delay_alu instid0(VALU_DEP_1) | instskip(SKIP_1) | instid1(VALU_DEP_2)
	v_fmamk_f32 v1, v5, 0xcf800000, v1
	v_cvt_u32_f32_e32 v6, v5
	v_cvt_u32_f32_e32 v5, v1
	global_store_b64 v[2:3], v[5:6], off
	s_branch .LBB21_685
.LBB21_684:
	s_mov_b32 s2, 0
.LBB21_685:
	s_delay_alu instid0(SALU_CYCLE_1)
	s_and_b32 vcc_lo, exec_lo, s2
	s_cbranch_vccz .LBB21_701
; %bb.686:
	v_cmp_gt_i16_e32 vcc_lo, 27, v4
	s_mov_b32 s1, -1
	s_cbranch_vccnz .LBB21_692
; %bb.687:
	v_cmp_lt_i16_e32 vcc_lo, 27, v4
	s_cbranch_vccz .LBB21_689
; %bb.688:
	v_cvt_u32_f32_e32 v1, v0
	s_mov_b32 s1, 0
	global_store_b32 v[2:3], v1, off
.LBB21_689:
	s_and_not1_b32 vcc_lo, exec_lo, s1
	s_cbranch_vccnz .LBB21_691
; %bb.690:
	v_cvt_u32_f32_e32 v1, v0
	global_store_b16 v[2:3], v1, off
.LBB21_691:
	s_mov_b32 s1, 0
.LBB21_692:
	s_delay_alu instid0(SALU_CYCLE_1)
	s_and_not1_b32 vcc_lo, exec_lo, s1
	s_cbranch_vccnz .LBB21_700
; %bb.693:
	v_and_b32_e32 v1, 0x7fffffff, v0
	v_mov_b32_e32 v5, 0x80
	s_mov_b32 s1, exec_lo
	s_delay_alu instid0(VALU_DEP_2)
	v_cmpx_gt_u32_e32 0x43800000, v1
	s_cbranch_execz .LBB21_699
; %bb.694:
	v_cmp_lt_u32_e32 vcc_lo, 0x3bffffff, v1
	s_mov_b32 s2, 0
                                        ; implicit-def: $vgpr1
	s_and_saveexec_b32 s3, vcc_lo
	s_delay_alu instid0(SALU_CYCLE_1)
	s_xor_b32 s3, exec_lo, s3
	s_cbranch_execz .LBB21_796
; %bb.695:
	v_bfe_u32 v1, v0, 20, 1
	s_mov_b32 s2, exec_lo
	s_delay_alu instid0(VALU_DEP_1) | instskip(NEXT) | instid1(VALU_DEP_1)
	v_add3_u32 v1, v0, v1, 0x487ffff
	v_lshrrev_b32_e32 v1, 20, v1
	s_or_saveexec_b32 s3, s3
                                        ; implicit-def: $sgpr4
	s_delay_alu instid0(SALU_CYCLE_1)
	s_xor_b32 exec_lo, exec_lo, s3
	s_cbranch_execnz .LBB21_797
.LBB21_696:
	s_or_b32 exec_lo, exec_lo, s3
	v_mov_b32_e32 v5, s4
	s_and_saveexec_b32 s3, s2
.LBB21_697:
	v_lshrrev_b32_e32 v5, 24, v0
	s_delay_alu instid0(VALU_DEP_1)
	v_and_or_b32 v5, 0x80, v5, v1
.LBB21_698:
	s_or_b32 exec_lo, exec_lo, s3
.LBB21_699:
	s_delay_alu instid0(SALU_CYCLE_1)
	s_or_b32 exec_lo, exec_lo, s1
	global_store_b8 v[2:3], v5, off
.LBB21_700:
	s_mov_b32 s1, -1
.LBB21_701:
	s_mov_b32 s2, 0
.LBB21_702:
	s_delay_alu instid0(SALU_CYCLE_1)
	s_and_b32 vcc_lo, exec_lo, s2
	s_cbranch_vccz .LBB21_743
; %bb.703:
	v_cmp_lt_i16_e32 vcc_lo, 22, v4
	s_mov_b32 s2, -1
	s_cbranch_vccz .LBB21_735
; %bb.704:
	v_cmp_gt_i16_e32 vcc_lo, 24, v4
	s_mov_b32 s1, -1
	s_cbranch_vccnz .LBB21_724
; %bb.705:
	v_cmp_lt_i16_e32 vcc_lo, 24, v4
	s_cbranch_vccz .LBB21_713
; %bb.706:
	v_and_b32_e32 v1, 0x7fffffff, v0
	v_mov_b32_e32 v5, 0x80
	s_mov_b32 s1, exec_lo
	s_delay_alu instid0(VALU_DEP_2)
	v_cmpx_gt_u32_e32 0x47800000, v1
	s_cbranch_execz .LBB21_712
; %bb.707:
	v_cmp_lt_u32_e32 vcc_lo, 0x37ffffff, v1
	s_mov_b32 s2, 0
                                        ; implicit-def: $vgpr1
	s_and_saveexec_b32 s3, vcc_lo
	s_delay_alu instid0(SALU_CYCLE_1)
	s_xor_b32 s3, exec_lo, s3
	s_cbranch_execz .LBB21_807
; %bb.708:
	v_bfe_u32 v1, v0, 21, 1
	s_mov_b32 s2, exec_lo
	s_delay_alu instid0(VALU_DEP_1) | instskip(NEXT) | instid1(VALU_DEP_1)
	v_add3_u32 v1, v0, v1, 0x88fffff
	v_lshrrev_b32_e32 v1, 21, v1
	s_or_saveexec_b32 s3, s3
                                        ; implicit-def: $sgpr4
	s_delay_alu instid0(SALU_CYCLE_1)
	s_xor_b32 exec_lo, exec_lo, s3
	s_cbranch_execnz .LBB21_808
.LBB21_709:
	s_or_b32 exec_lo, exec_lo, s3
	v_mov_b32_e32 v5, s4
	s_and_saveexec_b32 s3, s2
.LBB21_710:
	v_lshrrev_b32_e32 v5, 24, v0
	s_delay_alu instid0(VALU_DEP_1)
	v_and_or_b32 v5, 0x80, v5, v1
.LBB21_711:
	s_or_b32 exec_lo, exec_lo, s3
.LBB21_712:
	s_delay_alu instid0(SALU_CYCLE_1)
	s_or_b32 exec_lo, exec_lo, s1
	s_mov_b32 s1, 0
	global_store_b8 v[2:3], v5, off
.LBB21_713:
	s_and_b32 vcc_lo, exec_lo, s1
	s_cbranch_vccz .LBB21_723
; %bb.714:
	v_and_b32_e32 v5, 0x7fffffff, v0
	s_mov_b32 s1, exec_lo
                                        ; implicit-def: $vgpr1
	s_delay_alu instid0(VALU_DEP_1)
	v_cmpx_gt_u32_e32 0x43f00000, v5
	s_xor_b32 s1, exec_lo, s1
	s_cbranch_execz .LBB21_720
; %bb.715:
	s_mov_b32 s2, exec_lo
                                        ; implicit-def: $vgpr1
	v_cmpx_lt_u32_e32 0x3c7fffff, v5
	s_xor_b32 s2, exec_lo, s2
; %bb.716:
	v_bfe_u32 v1, v0, 20, 1
	s_delay_alu instid0(VALU_DEP_1) | instskip(NEXT) | instid1(VALU_DEP_1)
	v_add3_u32 v1, v0, v1, 0x407ffff
	v_and_b32_e32 v5, 0xff00000, v1
	v_lshrrev_b32_e32 v1, 20, v1
	s_delay_alu instid0(VALU_DEP_2) | instskip(NEXT) | instid1(VALU_DEP_2)
	v_cmp_ne_u32_e32 vcc_lo, 0x7f00000, v5
	v_cndmask_b32_e32 v1, 0x7e, v1, vcc_lo
; %bb.717:
	s_and_not1_saveexec_b32 s2, s2
; %bb.718:
	v_add_f32_e64 v1, 0x46800000, |v0|
; %bb.719:
	s_or_b32 exec_lo, exec_lo, s2
                                        ; implicit-def: $vgpr5
.LBB21_720:
	s_and_not1_saveexec_b32 s1, s1
; %bb.721:
	v_mov_b32_e32 v1, 0x7f
	v_cmp_lt_u32_e32 vcc_lo, 0x7f800000, v5
	s_delay_alu instid0(VALU_DEP_2)
	v_cndmask_b32_e32 v1, 0x7e, v1, vcc_lo
; %bb.722:
	s_or_b32 exec_lo, exec_lo, s1
	v_lshrrev_b32_e32 v5, 24, v0
	s_delay_alu instid0(VALU_DEP_1)
	v_and_or_b32 v1, 0x80, v5, v1
	global_store_b8 v[2:3], v1, off
.LBB21_723:
	s_mov_b32 s1, 0
.LBB21_724:
	s_delay_alu instid0(SALU_CYCLE_1)
	s_and_not1_b32 vcc_lo, exec_lo, s1
	s_cbranch_vccnz .LBB21_734
; %bb.725:
	v_and_b32_e32 v5, 0x7fffffff, v0
	s_mov_b32 s1, exec_lo
                                        ; implicit-def: $vgpr1
	s_delay_alu instid0(VALU_DEP_1)
	v_cmpx_gt_u32_e32 0x47800000, v5
	s_xor_b32 s1, exec_lo, s1
	s_cbranch_execz .LBB21_731
; %bb.726:
	s_mov_b32 s2, exec_lo
                                        ; implicit-def: $vgpr1
	v_cmpx_lt_u32_e32 0x387fffff, v5
	s_xor_b32 s2, exec_lo, s2
; %bb.727:
	v_bfe_u32 v1, v0, 21, 1
	s_delay_alu instid0(VALU_DEP_1) | instskip(NEXT) | instid1(VALU_DEP_1)
	v_add3_u32 v1, v0, v1, 0x80fffff
	v_lshrrev_b32_e32 v1, 21, v1
; %bb.728:
	s_and_not1_saveexec_b32 s2, s2
; %bb.729:
	v_add_f32_e64 v1, 0x43000000, |v0|
; %bb.730:
	s_or_b32 exec_lo, exec_lo, s2
                                        ; implicit-def: $vgpr5
.LBB21_731:
	s_and_not1_saveexec_b32 s1, s1
; %bb.732:
	v_mov_b32_e32 v1, 0x7f
	v_cmp_lt_u32_e32 vcc_lo, 0x7f800000, v5
	s_delay_alu instid0(VALU_DEP_2)
	v_cndmask_b32_e32 v1, 0x7c, v1, vcc_lo
; %bb.733:
	s_or_b32 exec_lo, exec_lo, s1
	v_lshrrev_b32_e32 v5, 24, v0
	s_delay_alu instid0(VALU_DEP_1)
	v_and_or_b32 v1, 0x80, v5, v1
	global_store_b8 v[2:3], v1, off
.LBB21_734:
	s_mov_b32 s2, 0
	s_mov_b32 s1, -1
.LBB21_735:
	s_and_not1_b32 vcc_lo, exec_lo, s2
	s_cbranch_vccnz .LBB21_743
; %bb.736:
	v_cmp_lt_i16_e32 vcc_lo, 14, v4
	s_mov_b32 s2, -1
	s_cbranch_vccz .LBB21_740
; %bb.737:
	v_cmp_eq_u16_e32 vcc_lo, 15, v4
	s_mov_b32 s0, -1
	s_cbranch_vccz .LBB21_739
; %bb.738:
	v_bfe_u32 v1, v0, 16, 1
	v_cmp_o_f32_e32 vcc_lo, v0, v0
	s_mov_b32 s1, -1
	s_mov_b32 s0, 0
	s_delay_alu instid0(VALU_DEP_2) | instskip(NEXT) | instid1(VALU_DEP_1)
	v_add3_u32 v1, v0, v1, 0x7fff
	v_lshrrev_b32_e32 v1, 16, v1
	s_delay_alu instid0(VALU_DEP_1)
	v_cndmask_b32_e32 v1, 0x7fc0, v1, vcc_lo
	global_store_b16 v[2:3], v1, off
.LBB21_739:
	s_mov_b32 s2, 0
.LBB21_740:
	s_delay_alu instid0(SALU_CYCLE_1)
	s_and_b32 vcc_lo, exec_lo, s2
	s_cbranch_vccz .LBB21_743
; %bb.741:
	v_cmp_eq_u16_e32 vcc_lo, 11, v4
	s_mov_b32 s0, -1
	s_cbranch_vccz .LBB21_743
; %bb.742:
	v_cmp_neq_f32_e32 vcc_lo, 0, v0
	s_mov_b32 s0, 0
	s_mov_b32 s1, -1
	v_cndmask_b32_e64 v1, 0, 1, vcc_lo
	global_store_b8 v[2:3], v1, off
.LBB21_743:
	s_branch .LBB21_568
.LBB21_744:
	v_cmp_gt_i16_e32 vcc_lo, 5, v4
	s_mov_b32 s1, -1
	s_cbranch_vccnz .LBB21_765
; %bb.745:
	v_cmp_gt_i16_e32 vcc_lo, 8, v4
	s_cbranch_vccnz .LBB21_755
; %bb.746:
	v_cmp_gt_i16_e32 vcc_lo, 9, v4
	s_cbranch_vccnz .LBB21_752
; %bb.747:
	v_cmp_lt_i16_e32 vcc_lo, 9, v4
	s_cbranch_vccz .LBB21_749
; %bb.748:
	v_cvt_f64_f32_e32 v[5:6], v0
	v_mov_b32_e32 v7, 0
	s_mov_b32 s1, 0
	s_delay_alu instid0(VALU_DEP_1)
	v_mov_b32_e32 v8, v7
	global_store_b128 v[2:3], v[5:8], off
.LBB21_749:
	s_and_not1_b32 vcc_lo, exec_lo, s1
	s_cbranch_vccnz .LBB21_751
; %bb.750:
	v_mov_b32_e32 v1, 0
	global_store_b64 v[2:3], v[0:1], off
.LBB21_751:
	s_mov_b32 s1, 0
.LBB21_752:
	s_delay_alu instid0(SALU_CYCLE_1)
	s_and_not1_b32 vcc_lo, exec_lo, s1
	s_cbranch_vccnz .LBB21_754
; %bb.753:
	v_cvt_f16_f32_e32 v1, v0
	s_delay_alu instid0(VALU_DEP_1)
	v_and_b32_e32 v1, 0xffff, v1
	global_store_b32 v[2:3], v1, off
.LBB21_754:
	s_mov_b32 s1, 0
.LBB21_755:
	s_delay_alu instid0(SALU_CYCLE_1)
	s_and_not1_b32 vcc_lo, exec_lo, s1
	s_cbranch_vccnz .LBB21_764
; %bb.756:
	v_cmp_gt_i16_e32 vcc_lo, 6, v4
	s_mov_b32 s1, -1
	s_cbranch_vccnz .LBB21_762
; %bb.757:
	v_cmp_lt_i16_e32 vcc_lo, 6, v4
	s_cbranch_vccz .LBB21_759
; %bb.758:
	v_cvt_f64_f32_e32 v[5:6], v0
	s_mov_b32 s1, 0
	global_store_b64 v[2:3], v[5:6], off
.LBB21_759:
	s_and_not1_b32 vcc_lo, exec_lo, s1
	s_cbranch_vccnz .LBB21_761
; %bb.760:
	global_store_b32 v[2:3], v0, off
.LBB21_761:
	s_mov_b32 s1, 0
.LBB21_762:
	s_delay_alu instid0(SALU_CYCLE_1)
	s_and_not1_b32 vcc_lo, exec_lo, s1
	s_cbranch_vccnz .LBB21_764
; %bb.763:
	v_cvt_f16_f32_e32 v1, v0
	global_store_b16 v[2:3], v1, off
.LBB21_764:
	s_mov_b32 s1, 0
.LBB21_765:
	s_delay_alu instid0(SALU_CYCLE_1)
	s_and_not1_b32 vcc_lo, exec_lo, s1
	s_cbranch_vccnz .LBB21_781
; %bb.766:
	v_cmp_gt_i16_e32 vcc_lo, 2, v4
	s_mov_b32 s1, -1
	s_cbranch_vccnz .LBB21_776
; %bb.767:
	v_cmp_gt_i16_e32 vcc_lo, 3, v4
	s_cbranch_vccnz .LBB21_773
; %bb.768:
	v_cmp_lt_i16_e32 vcc_lo, 3, v4
	s_cbranch_vccz .LBB21_770
; %bb.769:
	v_trunc_f32_e32 v1, v0
	s_mov_b32 s1, 0
	s_delay_alu instid0(VALU_DEP_1) | instskip(NEXT) | instid1(VALU_DEP_1)
	v_mul_f32_e64 v5, 0x2f800000, |v1|
	v_floor_f32_e32 v5, v5
	s_delay_alu instid0(VALU_DEP_1) | instskip(SKIP_2) | instid1(VALU_DEP_3)
	v_fma_f32 v6, 0xcf800000, v5, |v1|
	v_ashrrev_i32_e32 v1, 31, v1
	v_cvt_u32_f32_e32 v5, v5
	v_cvt_u32_f32_e32 v6, v6
	s_delay_alu instid0(VALU_DEP_2) | instskip(NEXT) | instid1(VALU_DEP_2)
	v_xor_b32_e32 v7, v5, v1
	v_xor_b32_e32 v6, v6, v1
	s_delay_alu instid0(VALU_DEP_1) | instskip(NEXT) | instid1(VALU_DEP_3)
	v_sub_co_u32 v5, vcc_lo, v6, v1
	v_sub_co_ci_u32_e32 v6, vcc_lo, v7, v1, vcc_lo
	global_store_b64 v[2:3], v[5:6], off
.LBB21_770:
	s_and_not1_b32 vcc_lo, exec_lo, s1
	s_cbranch_vccnz .LBB21_772
; %bb.771:
	v_cvt_i32_f32_e32 v1, v0
	global_store_b32 v[2:3], v1, off
.LBB21_772:
	s_mov_b32 s1, 0
.LBB21_773:
	s_delay_alu instid0(SALU_CYCLE_1)
	s_and_not1_b32 vcc_lo, exec_lo, s1
	s_cbranch_vccnz .LBB21_775
; %bb.774:
	v_cvt_i32_f32_e32 v1, v0
	global_store_b16 v[2:3], v1, off
.LBB21_775:
	s_mov_b32 s1, 0
.LBB21_776:
	s_delay_alu instid0(SALU_CYCLE_1)
	s_and_not1_b32 vcc_lo, exec_lo, s1
	s_cbranch_vccnz .LBB21_781
; %bb.777:
	v_cmp_lt_i16_e32 vcc_lo, 0, v4
	s_mov_b32 s1, -1
	s_cbranch_vccz .LBB21_779
; %bb.778:
	v_cvt_i32_f32_e32 v1, v0
	s_mov_b32 s1, 0
	global_store_b8 v[2:3], v1, off
.LBB21_779:
	s_and_not1_b32 vcc_lo, exec_lo, s1
	s_cbranch_vccnz .LBB21_781
; %bb.780:
	v_trunc_f32_e32 v0, v0
	s_delay_alu instid0(VALU_DEP_1) | instskip(NEXT) | instid1(VALU_DEP_1)
	v_mul_f32_e64 v1, 0x2f800000, |v0|
	v_floor_f32_e32 v1, v1
	s_delay_alu instid0(VALU_DEP_1) | instskip(SKIP_1) | instid1(VALU_DEP_2)
	v_fma_f32 v1, 0xcf800000, v1, |v0|
	v_ashrrev_i32_e32 v0, 31, v0
	v_cvt_u32_f32_e32 v1, v1
	s_delay_alu instid0(VALU_DEP_1) | instskip(NEXT) | instid1(VALU_DEP_1)
	v_xor_b32_e32 v1, v1, v0
	v_sub_nc_u32_e32 v0, v1, v0
	global_store_b8 v[2:3], v0, off
.LBB21_781:
	s_branch .LBB21_569
.LBB21_782:
	s_mov_b32 s1, 0
                                        ; implicit-def: $vgpr26
.LBB21_783:
	s_and_not1_b32 s2, s20, exec_lo
	s_and_b32 s0, s0, exec_lo
	s_delay_alu instid0(SALU_CYCLE_1)
	s_or_b32 s23, s2, s0
	s_or_not1_b32 s2, s1, exec_lo
.LBB21_784:
	s_or_b32 exec_lo, exec_lo, s24
	s_mov_b32 s0, 0
	s_mov_b32 s1, 0
                                        ; implicit-def: $vgpr4
                                        ; implicit-def: $vgpr2_vgpr3
                                        ; implicit-def: $vgpr0
	s_and_saveexec_b32 s24, s2
	s_cbranch_execz .LBB21_1019
; %bb.785:
	s_mov_b32 s2, -1
	s_mov_b32 s26, s23
	s_mov_b32 s25, exec_lo
	v_cmpx_gt_i32_e64 s21, v26
	s_cbranch_execz .LBB21_922
; %bb.786:
	v_dual_mov_b32 v0, s18 :: v_dual_mov_b32 v1, s19
	v_dual_mov_b32 v2, s13 :: v_dual_mov_b32 v3, v27
	v_mov_b32_e32 v4, v26
	s_getpc_b64 s[0:1]
	s_add_u32 s0, s0, _ZN2at6native6invokeIZZZNS0_12_GLOBAL__N_130modified_bessel_k0_kernel_cudaERNS_18TensorIteratorBaseEENKUlvE_clEvENKUlvE0_clEvEUlfE_i15function_traitsIS7_EEENT1_11result_typeERKT_PrKPcPKT0_PKN3c1010ScalarTypeEi@rel32@lo+4
	s_addc_u32 s1, s1, _ZN2at6native6invokeIZZZNS0_12_GLOBAL__N_130modified_bessel_k0_kernel_cudaERNS_18TensorIteratorBaseEENKUlvE_clEvENKUlvE0_clEvEUlfE_i15function_traitsIS7_EEENT1_11result_typeERKT_PrKPcPKT0_PKN3c1010ScalarTypeEi@rel32@hi+12
	s_delay_alu instid0(SALU_CYCLE_1) | instskip(SKIP_2) | instid1(VALU_DEP_1)
	s_swappc_b64 s[30:31], s[0:1]
	v_mul_lo_u32 v1, v26, s12
	v_and_b32_e32 v4, 0xff, v30
	v_cmp_gt_i16_e32 vcc_lo, 11, v4
	s_delay_alu instid0(VALU_DEP_3) | instskip(SKIP_1) | instid1(VALU_DEP_1)
	v_ashrrev_i32_e32 v3, 31, v1
	v_add_co_u32 v2, s0, s16, v1
	v_add_co_ci_u32_e64 v3, s0, s17, v3, s0
	s_cbranch_vccnz .LBB21_793
; %bb.787:
	v_cmp_lt_i16_e32 vcc_lo, 25, v4
	s_cbranch_vccz .LBB21_794
; %bb.788:
	v_cmp_lt_i16_e32 vcc_lo, 28, v4
	s_cbranch_vccz .LBB21_795
	;; [unrolled: 3-line block ×4, first 2 shown]
; %bb.791:
	v_cmp_eq_u16_e32 vcc_lo, 46, v4
	s_mov_b32 s2, 0
	s_mov_b32 s0, -1
	s_mov_b32 s1, 0
	s_cbranch_vccz .LBB21_810
; %bb.792:
	v_bfe_u32 v1, v0, 16, 1
	v_cmp_o_f32_e32 vcc_lo, v0, v0
	s_mov_b32 s1, -1
	s_mov_b32 s0, 0
	s_delay_alu instid0(VALU_DEP_2) | instskip(NEXT) | instid1(VALU_DEP_1)
	v_add3_u32 v1, v0, v1, 0x7fff
	v_lshrrev_b32_e32 v1, 16, v1
	s_delay_alu instid0(VALU_DEP_1)
	v_cndmask_b32_e32 v1, 0x7fc0, v1, vcc_lo
	global_store_b32 v[2:3], v1, off
	s_branch .LBB21_810
.LBB21_793:
	s_mov_b32 s2, -1
	s_mov_b32 s1, 0
	s_mov_b32 s0, s23
	s_branch .LBB21_879
.LBB21_794:
	s_mov_b32 s2, -1
	s_mov_b32 s1, 0
	s_mov_b32 s0, s23
	s_branch .LBB21_837
.LBB21_795:
	s_mov_b32 s2, -1
	s_mov_b32 s1, 0
	s_mov_b32 s0, s23
	s_branch .LBB21_820
.LBB21_796:
	s_or_saveexec_b32 s3, s3
                                        ; implicit-def: $sgpr4
	s_delay_alu instid0(SALU_CYCLE_1)
	s_xor_b32 exec_lo, exec_lo, s3
	s_cbranch_execz .LBB21_696
.LBB21_797:
	v_add_f32_e64 v1, 0x46000000, |v0|
	s_and_not1_b32 s2, s2, exec_lo
	s_mov_b32 s4, 0
	s_delay_alu instid0(VALU_DEP_1) | instskip(NEXT) | instid1(VALU_DEP_1)
	v_and_b32_e32 v1, 0xff, v1
	v_cmp_ne_u32_e32 vcc_lo, 0, v1
	s_and_b32 s5, vcc_lo, exec_lo
	s_delay_alu instid0(SALU_CYCLE_1)
	s_or_b32 s2, s2, s5
	s_or_b32 exec_lo, exec_lo, s3
	v_mov_b32_e32 v5, s4
	s_and_saveexec_b32 s3, s2
	s_cbranch_execnz .LBB21_697
	s_branch .LBB21_698
.LBB21_798:
	s_mov_b32 s2, -1
	s_mov_b32 s1, 0
	s_mov_b32 s0, s23
	s_branch .LBB21_816
.LBB21_799:
	s_or_saveexec_b32 s5, s5
                                        ; implicit-def: $sgpr6
	s_delay_alu instid0(SALU_CYCLE_1)
	s_xor_b32 exec_lo, exec_lo, s5
	s_cbranch_execz .LBB21_335
.LBB21_800:
	v_add_f32_e64 v5, 0x42800000, |v24|
	s_and_not1_b32 s4, s4, exec_lo
	s_mov_b32 s6, 0
	s_delay_alu instid0(VALU_DEP_1) | instskip(NEXT) | instid1(VALU_DEP_1)
	v_and_b32_e32 v5, 0xff, v5
	v_cmp_ne_u32_e32 vcc_lo, 0, v5
	s_and_b32 s7, vcc_lo, exec_lo
	s_delay_alu instid0(SALU_CYCLE_1)
	s_or_b32 s4, s4, s7
	s_or_b32 exec_lo, exec_lo, s5
	v_mov_b32_e32 v6, s6
	s_and_saveexec_b32 s5, s4
	s_cbranch_execnz .LBB21_336
	s_branch .LBB21_337
.LBB21_801:
	s_or_saveexec_b32 s6, s6
                                        ; implicit-def: $sgpr7
	s_delay_alu instid0(SALU_CYCLE_1)
	s_xor_b32 exec_lo, exec_lo, s6
	s_cbranch_execz .LBB21_440
.LBB21_802:
	v_add_f32_e64 v5, 0x46000000, |v23|
	s_and_not1_b32 s5, s5, exec_lo
	s_mov_b32 s7, 0
	s_delay_alu instid0(VALU_DEP_1) | instskip(NEXT) | instid1(VALU_DEP_1)
	v_and_b32_e32 v5, 0xff, v5
	v_cmp_ne_u32_e32 vcc_lo, 0, v5
	s_and_b32 s8, vcc_lo, exec_lo
	s_delay_alu instid0(SALU_CYCLE_1)
	s_or_b32 s5, s5, s8
	s_or_b32 exec_lo, exec_lo, s6
	v_mov_b32_e32 v6, s7
	s_and_saveexec_b32 s6, s5
	s_cbranch_execnz .LBB21_441
	s_branch .LBB21_442
.LBB21_803:
	s_trap 2
	s_sendmsg_rtn_b32 s0, sendmsg(MSG_RTN_GET_DOORBELL)
	s_mov_b32 ttmp2, m0
	s_waitcnt lgkmcnt(0)
	s_and_b32 s0, s0, 0x3ff
	s_delay_alu instid0(SALU_CYCLE_1) | instskip(NEXT) | instid1(SALU_CYCLE_1)
	s_bitset1_b32 s0, 10
	s_mov_b32 m0, s0
	s_sendmsg sendmsg(MSG_INTERRUPT)
	s_mov_b32 m0, ttmp2
.LBB21_804:                             ; =>This Inner Loop Header: Depth=1
	s_sethalt 5
	s_branch .LBB21_804
.LBB21_805:
	s_cbranch_execnz .LBB21_938
; %bb.806:
	s_or_b32 s1, s1, exec_lo
	s_cbranch_execz .LBB21_488
	s_branch .LBB21_489
.LBB21_807:
	s_or_saveexec_b32 s3, s3
                                        ; implicit-def: $sgpr4
	s_delay_alu instid0(SALU_CYCLE_1)
	s_xor_b32 exec_lo, exec_lo, s3
	s_cbranch_execz .LBB21_709
.LBB21_808:
	v_add_f32_e64 v1, 0x42800000, |v0|
	s_and_not1_b32 s2, s2, exec_lo
	s_mov_b32 s4, 0
	s_delay_alu instid0(VALU_DEP_1) | instskip(NEXT) | instid1(VALU_DEP_1)
	v_and_b32_e32 v1, 0xff, v1
	v_cmp_ne_u32_e32 vcc_lo, 0, v1
	s_and_b32 s5, vcc_lo, exec_lo
	s_delay_alu instid0(SALU_CYCLE_1)
	s_or_b32 s2, s2, s5
	s_or_b32 exec_lo, exec_lo, s3
	v_mov_b32_e32 v5, s4
	s_and_saveexec_b32 s3, s2
	s_cbranch_execnz .LBB21_710
	s_branch .LBB21_711
.LBB21_809:
	s_mov_b32 s2, -1
	s_mov_b32 s1, 0
	s_mov_b32 s0, s23
.LBB21_810:
	s_and_b32 vcc_lo, exec_lo, s2
	s_cbranch_vccz .LBB21_815
; %bb.811:
	v_cmp_eq_u16_e32 vcc_lo, 44, v4
	s_mov_b32 s0, -1
	s_cbranch_vccz .LBB21_815
; %bb.812:
	v_bfe_u32 v5, v0, 23, 8
	v_mov_b32_e32 v1, 0xff
	s_mov_b32 s1, exec_lo
	s_delay_alu instid0(VALU_DEP_2)
	v_cmpx_ne_u32_e32 0xff, v5
; %bb.813:
	v_and_b32_e32 v1, 0x400000, v0
	v_and_or_b32 v5, 0x3fffff, v0, v5
	s_delay_alu instid0(VALU_DEP_2) | instskip(NEXT) | instid1(VALU_DEP_2)
	v_cmp_ne_u32_e32 vcc_lo, 0, v1
	v_cmp_ne_u32_e64 s0, 0, v5
	v_lshrrev_b32_e32 v1, 23, v0
	s_delay_alu instid0(VALU_DEP_2) | instskip(NEXT) | instid1(SALU_CYCLE_1)
	s_and_b32 s0, vcc_lo, s0
	v_cndmask_b32_e64 v5, 0, 1, s0
	s_delay_alu instid0(VALU_DEP_1)
	v_add_nc_u32_e32 v1, v1, v5
; %bb.814:
	s_or_b32 exec_lo, exec_lo, s1
	s_mov_b32 s1, -1
	s_mov_b32 s0, 0
	global_store_b8 v[2:3], v1, off
.LBB21_815:
	s_mov_b32 s2, 0
.LBB21_816:
	s_delay_alu instid0(SALU_CYCLE_1)
	s_and_b32 vcc_lo, exec_lo, s2
	s_cbranch_vccz .LBB21_819
; %bb.817:
	v_cmp_eq_u16_e32 vcc_lo, 29, v4
	s_mov_b32 s0, -1
	s_cbranch_vccz .LBB21_819
; %bb.818:
	v_trunc_f32_e32 v1, v0
	s_mov_b32 s1, -1
	s_mov_b32 s0, 0
	s_mov_b32 s2, 0
	s_delay_alu instid0(VALU_DEP_1) | instskip(NEXT) | instid1(VALU_DEP_1)
	v_mul_f32_e32 v5, 0x2f800000, v1
	v_floor_f32_e32 v5, v5
	s_delay_alu instid0(VALU_DEP_1) | instskip(SKIP_1) | instid1(VALU_DEP_2)
	v_fmamk_f32 v1, v5, 0xcf800000, v1
	v_cvt_u32_f32_e32 v6, v5
	v_cvt_u32_f32_e32 v5, v1
	global_store_b64 v[2:3], v[5:6], off
	s_branch .LBB21_820
.LBB21_819:
	s_mov_b32 s2, 0
.LBB21_820:
	s_delay_alu instid0(SALU_CYCLE_1)
	s_and_b32 vcc_lo, exec_lo, s2
	s_cbranch_vccz .LBB21_836
; %bb.821:
	v_cmp_gt_i16_e32 vcc_lo, 27, v4
	s_mov_b32 s1, -1
	s_cbranch_vccnz .LBB21_827
; %bb.822:
	v_cmp_lt_i16_e32 vcc_lo, 27, v4
	s_cbranch_vccz .LBB21_824
; %bb.823:
	v_cvt_u32_f32_e32 v1, v0
	s_mov_b32 s1, 0
	global_store_b32 v[2:3], v1, off
.LBB21_824:
	s_and_not1_b32 vcc_lo, exec_lo, s1
	s_cbranch_vccnz .LBB21_826
; %bb.825:
	v_cvt_u32_f32_e32 v1, v0
	global_store_b16 v[2:3], v1, off
.LBB21_826:
	s_mov_b32 s1, 0
.LBB21_827:
	s_delay_alu instid0(SALU_CYCLE_1)
	s_and_not1_b32 vcc_lo, exec_lo, s1
	s_cbranch_vccnz .LBB21_835
; %bb.828:
	v_and_b32_e32 v1, 0x7fffffff, v0
	v_mov_b32_e32 v5, 0x80
	s_mov_b32 s1, exec_lo
	s_delay_alu instid0(VALU_DEP_2)
	v_cmpx_gt_u32_e32 0x43800000, v1
	s_cbranch_execz .LBB21_834
; %bb.829:
	v_cmp_lt_u32_e32 vcc_lo, 0x3bffffff, v1
	s_mov_b32 s2, 0
                                        ; implicit-def: $vgpr1
	s_and_saveexec_b32 s3, vcc_lo
	s_delay_alu instid0(SALU_CYCLE_1)
	s_xor_b32 s3, exec_lo, s3
	s_cbranch_execz .LBB21_932
; %bb.830:
	v_bfe_u32 v1, v0, 20, 1
	s_mov_b32 s2, exec_lo
	s_delay_alu instid0(VALU_DEP_1) | instskip(NEXT) | instid1(VALU_DEP_1)
	v_add3_u32 v1, v0, v1, 0x487ffff
	v_lshrrev_b32_e32 v1, 20, v1
	s_or_saveexec_b32 s3, s3
                                        ; implicit-def: $sgpr4
	s_delay_alu instid0(SALU_CYCLE_1)
	s_xor_b32 exec_lo, exec_lo, s3
	s_cbranch_execnz .LBB21_933
.LBB21_831:
	s_or_b32 exec_lo, exec_lo, s3
	v_mov_b32_e32 v5, s4
	s_and_saveexec_b32 s3, s2
.LBB21_832:
	v_lshrrev_b32_e32 v5, 24, v0
	s_delay_alu instid0(VALU_DEP_1)
	v_and_or_b32 v5, 0x80, v5, v1
.LBB21_833:
	s_or_b32 exec_lo, exec_lo, s3
.LBB21_834:
	s_delay_alu instid0(SALU_CYCLE_1)
	s_or_b32 exec_lo, exec_lo, s1
	global_store_b8 v[2:3], v5, off
.LBB21_835:
	s_mov_b32 s1, -1
.LBB21_836:
	s_mov_b32 s2, 0
.LBB21_837:
	s_delay_alu instid0(SALU_CYCLE_1)
	s_and_b32 vcc_lo, exec_lo, s2
	s_cbranch_vccz .LBB21_878
; %bb.838:
	v_cmp_lt_i16_e32 vcc_lo, 22, v4
	s_mov_b32 s2, -1
	s_cbranch_vccz .LBB21_870
; %bb.839:
	v_cmp_gt_i16_e32 vcc_lo, 24, v4
	s_mov_b32 s1, -1
	s_cbranch_vccnz .LBB21_859
; %bb.840:
	v_cmp_lt_i16_e32 vcc_lo, 24, v4
	s_cbranch_vccz .LBB21_848
; %bb.841:
	v_and_b32_e32 v1, 0x7fffffff, v0
	v_mov_b32_e32 v5, 0x80
	s_mov_b32 s1, exec_lo
	s_delay_alu instid0(VALU_DEP_2)
	v_cmpx_gt_u32_e32 0x47800000, v1
	s_cbranch_execz .LBB21_847
; %bb.842:
	v_cmp_lt_u32_e32 vcc_lo, 0x37ffffff, v1
	s_mov_b32 s2, 0
                                        ; implicit-def: $vgpr1
	s_and_saveexec_b32 s3, vcc_lo
	s_delay_alu instid0(SALU_CYCLE_1)
	s_xor_b32 s3, exec_lo, s3
	s_cbranch_execz .LBB21_942
; %bb.843:
	v_bfe_u32 v1, v0, 21, 1
	s_mov_b32 s2, exec_lo
	s_delay_alu instid0(VALU_DEP_1) | instskip(NEXT) | instid1(VALU_DEP_1)
	v_add3_u32 v1, v0, v1, 0x88fffff
	v_lshrrev_b32_e32 v1, 21, v1
	s_or_saveexec_b32 s3, s3
                                        ; implicit-def: $sgpr4
	s_delay_alu instid0(SALU_CYCLE_1)
	s_xor_b32 exec_lo, exec_lo, s3
	s_cbranch_execnz .LBB21_943
.LBB21_844:
	s_or_b32 exec_lo, exec_lo, s3
	v_mov_b32_e32 v5, s4
	s_and_saveexec_b32 s3, s2
.LBB21_845:
	v_lshrrev_b32_e32 v5, 24, v0
	s_delay_alu instid0(VALU_DEP_1)
	v_and_or_b32 v5, 0x80, v5, v1
.LBB21_846:
	s_or_b32 exec_lo, exec_lo, s3
.LBB21_847:
	s_delay_alu instid0(SALU_CYCLE_1)
	s_or_b32 exec_lo, exec_lo, s1
	s_mov_b32 s1, 0
	global_store_b8 v[2:3], v5, off
.LBB21_848:
	s_and_b32 vcc_lo, exec_lo, s1
	s_cbranch_vccz .LBB21_858
; %bb.849:
	v_and_b32_e32 v5, 0x7fffffff, v0
	s_mov_b32 s1, exec_lo
                                        ; implicit-def: $vgpr1
	s_delay_alu instid0(VALU_DEP_1)
	v_cmpx_gt_u32_e32 0x43f00000, v5
	s_xor_b32 s1, exec_lo, s1
	s_cbranch_execz .LBB21_855
; %bb.850:
	s_mov_b32 s2, exec_lo
                                        ; implicit-def: $vgpr1
	v_cmpx_lt_u32_e32 0x3c7fffff, v5
	s_xor_b32 s2, exec_lo, s2
; %bb.851:
	v_bfe_u32 v1, v0, 20, 1
	s_delay_alu instid0(VALU_DEP_1) | instskip(NEXT) | instid1(VALU_DEP_1)
	v_add3_u32 v1, v0, v1, 0x407ffff
	v_and_b32_e32 v5, 0xff00000, v1
	v_lshrrev_b32_e32 v1, 20, v1
	s_delay_alu instid0(VALU_DEP_2) | instskip(NEXT) | instid1(VALU_DEP_2)
	v_cmp_ne_u32_e32 vcc_lo, 0x7f00000, v5
	v_cndmask_b32_e32 v1, 0x7e, v1, vcc_lo
; %bb.852:
	s_and_not1_saveexec_b32 s2, s2
; %bb.853:
	v_add_f32_e64 v1, 0x46800000, |v0|
; %bb.854:
	s_or_b32 exec_lo, exec_lo, s2
                                        ; implicit-def: $vgpr5
.LBB21_855:
	s_and_not1_saveexec_b32 s1, s1
; %bb.856:
	v_mov_b32_e32 v1, 0x7f
	v_cmp_lt_u32_e32 vcc_lo, 0x7f800000, v5
	s_delay_alu instid0(VALU_DEP_2)
	v_cndmask_b32_e32 v1, 0x7e, v1, vcc_lo
; %bb.857:
	s_or_b32 exec_lo, exec_lo, s1
	v_lshrrev_b32_e32 v5, 24, v0
	s_delay_alu instid0(VALU_DEP_1)
	v_and_or_b32 v1, 0x80, v5, v1
	global_store_b8 v[2:3], v1, off
.LBB21_858:
	s_mov_b32 s1, 0
.LBB21_859:
	s_delay_alu instid0(SALU_CYCLE_1)
	s_and_not1_b32 vcc_lo, exec_lo, s1
	s_cbranch_vccnz .LBB21_869
; %bb.860:
	v_and_b32_e32 v5, 0x7fffffff, v0
	s_mov_b32 s1, exec_lo
                                        ; implicit-def: $vgpr1
	s_delay_alu instid0(VALU_DEP_1)
	v_cmpx_gt_u32_e32 0x47800000, v5
	s_xor_b32 s1, exec_lo, s1
	s_cbranch_execz .LBB21_866
; %bb.861:
	s_mov_b32 s2, exec_lo
                                        ; implicit-def: $vgpr1
	v_cmpx_lt_u32_e32 0x387fffff, v5
	s_xor_b32 s2, exec_lo, s2
; %bb.862:
	v_bfe_u32 v1, v0, 21, 1
	s_delay_alu instid0(VALU_DEP_1) | instskip(NEXT) | instid1(VALU_DEP_1)
	v_add3_u32 v1, v0, v1, 0x80fffff
	v_lshrrev_b32_e32 v1, 21, v1
; %bb.863:
	s_and_not1_saveexec_b32 s2, s2
; %bb.864:
	v_add_f32_e64 v1, 0x43000000, |v0|
; %bb.865:
	s_or_b32 exec_lo, exec_lo, s2
                                        ; implicit-def: $vgpr5
.LBB21_866:
	s_and_not1_saveexec_b32 s1, s1
; %bb.867:
	v_mov_b32_e32 v1, 0x7f
	v_cmp_lt_u32_e32 vcc_lo, 0x7f800000, v5
	s_delay_alu instid0(VALU_DEP_2)
	v_cndmask_b32_e32 v1, 0x7c, v1, vcc_lo
; %bb.868:
	s_or_b32 exec_lo, exec_lo, s1
	v_lshrrev_b32_e32 v5, 24, v0
	s_delay_alu instid0(VALU_DEP_1)
	v_and_or_b32 v1, 0x80, v5, v1
	global_store_b8 v[2:3], v1, off
.LBB21_869:
	s_mov_b32 s2, 0
	s_mov_b32 s1, -1
.LBB21_870:
	s_and_not1_b32 vcc_lo, exec_lo, s2
	s_cbranch_vccnz .LBB21_878
; %bb.871:
	v_cmp_lt_i16_e32 vcc_lo, 14, v4
	s_mov_b32 s2, -1
	s_cbranch_vccz .LBB21_875
; %bb.872:
	v_cmp_eq_u16_e32 vcc_lo, 15, v4
	s_mov_b32 s0, -1
	s_cbranch_vccz .LBB21_874
; %bb.873:
	v_bfe_u32 v1, v0, 16, 1
	v_cmp_o_f32_e32 vcc_lo, v0, v0
	s_mov_b32 s1, -1
	s_mov_b32 s0, 0
	s_delay_alu instid0(VALU_DEP_2) | instskip(NEXT) | instid1(VALU_DEP_1)
	v_add3_u32 v1, v0, v1, 0x7fff
	v_lshrrev_b32_e32 v1, 16, v1
	s_delay_alu instid0(VALU_DEP_1)
	v_cndmask_b32_e32 v1, 0x7fc0, v1, vcc_lo
	global_store_b16 v[2:3], v1, off
.LBB21_874:
	s_mov_b32 s2, 0
.LBB21_875:
	s_delay_alu instid0(SALU_CYCLE_1)
	s_and_b32 vcc_lo, exec_lo, s2
	s_cbranch_vccz .LBB21_878
; %bb.876:
	v_cmp_eq_u16_e32 vcc_lo, 11, v4
	s_mov_b32 s0, -1
	s_cbranch_vccz .LBB21_878
; %bb.877:
	v_cmp_neq_f32_e32 vcc_lo, 0, v0
	s_mov_b32 s0, 0
	s_mov_b32 s1, -1
	v_cndmask_b32_e64 v1, 0, 1, vcc_lo
	global_store_b8 v[2:3], v1, off
.LBB21_878:
	s_mov_b32 s2, 0
.LBB21_879:
	s_delay_alu instid0(SALU_CYCLE_1)
	s_and_b32 vcc_lo, exec_lo, s2
	s_cbranch_vccz .LBB21_918
; %bb.880:
	v_cmp_gt_i16_e32 vcc_lo, 5, v4
	s_mov_b32 s1, -1
	s_cbranch_vccnz .LBB21_901
; %bb.881:
	v_cmp_gt_i16_e32 vcc_lo, 8, v4
	s_cbranch_vccnz .LBB21_891
; %bb.882:
	v_cmp_gt_i16_e32 vcc_lo, 9, v4
	s_cbranch_vccnz .LBB21_888
; %bb.883:
	v_cmp_lt_i16_e32 vcc_lo, 9, v4
	s_cbranch_vccz .LBB21_885
; %bb.884:
	v_cvt_f64_f32_e32 v[5:6], v0
	v_mov_b32_e32 v7, 0
	s_mov_b32 s1, 0
	s_delay_alu instid0(VALU_DEP_1)
	v_mov_b32_e32 v8, v7
	global_store_b128 v[2:3], v[5:8], off
.LBB21_885:
	s_and_not1_b32 vcc_lo, exec_lo, s1
	s_cbranch_vccnz .LBB21_887
; %bb.886:
	v_mov_b32_e32 v1, 0
	global_store_b64 v[2:3], v[0:1], off
.LBB21_887:
	s_mov_b32 s1, 0
.LBB21_888:
	s_delay_alu instid0(SALU_CYCLE_1)
	s_and_not1_b32 vcc_lo, exec_lo, s1
	s_cbranch_vccnz .LBB21_890
; %bb.889:
	v_cvt_f16_f32_e32 v1, v0
	s_delay_alu instid0(VALU_DEP_1)
	v_and_b32_e32 v1, 0xffff, v1
	global_store_b32 v[2:3], v1, off
.LBB21_890:
	s_mov_b32 s1, 0
.LBB21_891:
	s_delay_alu instid0(SALU_CYCLE_1)
	s_and_not1_b32 vcc_lo, exec_lo, s1
	s_cbranch_vccnz .LBB21_900
; %bb.892:
	v_cmp_gt_i16_e32 vcc_lo, 6, v4
	s_mov_b32 s1, -1
	s_cbranch_vccnz .LBB21_898
; %bb.893:
	v_cmp_lt_i16_e32 vcc_lo, 6, v4
	s_cbranch_vccz .LBB21_895
; %bb.894:
	v_cvt_f64_f32_e32 v[5:6], v0
	s_mov_b32 s1, 0
	global_store_b64 v[2:3], v[5:6], off
.LBB21_895:
	s_and_not1_b32 vcc_lo, exec_lo, s1
	s_cbranch_vccnz .LBB21_897
; %bb.896:
	global_store_b32 v[2:3], v0, off
.LBB21_897:
	s_mov_b32 s1, 0
.LBB21_898:
	s_delay_alu instid0(SALU_CYCLE_1)
	s_and_not1_b32 vcc_lo, exec_lo, s1
	s_cbranch_vccnz .LBB21_900
; %bb.899:
	v_cvt_f16_f32_e32 v1, v0
	global_store_b16 v[2:3], v1, off
.LBB21_900:
	s_mov_b32 s1, 0
.LBB21_901:
	s_delay_alu instid0(SALU_CYCLE_1)
	s_and_not1_b32 vcc_lo, exec_lo, s1
	s_cbranch_vccnz .LBB21_917
; %bb.902:
	v_cmp_gt_i16_e32 vcc_lo, 2, v4
	s_mov_b32 s1, -1
	s_cbranch_vccnz .LBB21_912
; %bb.903:
	v_cmp_gt_i16_e32 vcc_lo, 3, v4
	s_cbranch_vccnz .LBB21_909
; %bb.904:
	v_cmp_lt_i16_e32 vcc_lo, 3, v4
	s_cbranch_vccz .LBB21_906
; %bb.905:
	v_trunc_f32_e32 v1, v0
	s_mov_b32 s1, 0
	s_delay_alu instid0(VALU_DEP_1) | instskip(NEXT) | instid1(VALU_DEP_1)
	v_mul_f32_e64 v5, 0x2f800000, |v1|
	v_floor_f32_e32 v5, v5
	s_delay_alu instid0(VALU_DEP_1) | instskip(SKIP_2) | instid1(VALU_DEP_3)
	v_fma_f32 v6, 0xcf800000, v5, |v1|
	v_ashrrev_i32_e32 v1, 31, v1
	v_cvt_u32_f32_e32 v5, v5
	v_cvt_u32_f32_e32 v6, v6
	s_delay_alu instid0(VALU_DEP_2) | instskip(NEXT) | instid1(VALU_DEP_2)
	v_xor_b32_e32 v7, v5, v1
	v_xor_b32_e32 v6, v6, v1
	s_delay_alu instid0(VALU_DEP_1) | instskip(NEXT) | instid1(VALU_DEP_3)
	v_sub_co_u32 v5, vcc_lo, v6, v1
	v_sub_co_ci_u32_e32 v6, vcc_lo, v7, v1, vcc_lo
	global_store_b64 v[2:3], v[5:6], off
.LBB21_906:
	s_and_not1_b32 vcc_lo, exec_lo, s1
	s_cbranch_vccnz .LBB21_908
; %bb.907:
	v_cvt_i32_f32_e32 v1, v0
	global_store_b32 v[2:3], v1, off
.LBB21_908:
	s_mov_b32 s1, 0
.LBB21_909:
	s_delay_alu instid0(SALU_CYCLE_1)
	s_and_not1_b32 vcc_lo, exec_lo, s1
	s_cbranch_vccnz .LBB21_911
; %bb.910:
	v_cvt_i32_f32_e32 v1, v0
	global_store_b16 v[2:3], v1, off
.LBB21_911:
	s_mov_b32 s1, 0
.LBB21_912:
	s_delay_alu instid0(SALU_CYCLE_1)
	s_and_not1_b32 vcc_lo, exec_lo, s1
	s_cbranch_vccnz .LBB21_917
; %bb.913:
	v_cmp_lt_i16_e32 vcc_lo, 0, v4
	s_mov_b32 s1, -1
	s_cbranch_vccz .LBB21_915
; %bb.914:
	v_cvt_i32_f32_e32 v1, v0
	s_mov_b32 s1, 0
	global_store_b8 v[2:3], v1, off
.LBB21_915:
	s_and_not1_b32 vcc_lo, exec_lo, s1
	s_cbranch_vccnz .LBB21_917
; %bb.916:
	v_trunc_f32_e32 v0, v0
	s_delay_alu instid0(VALU_DEP_1) | instskip(NEXT) | instid1(VALU_DEP_1)
	v_mul_f32_e64 v1, 0x2f800000, |v0|
	v_floor_f32_e32 v1, v1
	s_delay_alu instid0(VALU_DEP_1) | instskip(SKIP_1) | instid1(VALU_DEP_2)
	v_fma_f32 v1, 0xcf800000, v1, |v0|
	v_ashrrev_i32_e32 v0, 31, v0
	v_cvt_u32_f32_e32 v1, v1
	s_delay_alu instid0(VALU_DEP_1) | instskip(NEXT) | instid1(VALU_DEP_1)
	v_xor_b32_e32 v1, v1, v0
	v_sub_nc_u32_e32 v0, v1, v0
	global_store_b8 v[2:3], v0, off
.LBB21_917:
	s_mov_b32 s1, -1
.LBB21_918:
	s_delay_alu instid0(SALU_CYCLE_1)
	s_and_not1_b32 vcc_lo, exec_lo, s1
	s_cbranch_vccnz .LBB21_920
; %bb.919:
	v_add_nc_u32_e32 v26, 0x80, v26
	s_mov_b32 s1, -1
	s_branch .LBB21_921
.LBB21_920:
	s_mov_b32 s1, 0
                                        ; implicit-def: $vgpr26
.LBB21_921:
	s_and_not1_b32 s2, s23, exec_lo
	s_and_b32 s0, s0, exec_lo
	s_delay_alu instid0(SALU_CYCLE_1)
	s_or_b32 s26, s2, s0
	s_or_not1_b32 s2, s1, exec_lo
.LBB21_922:
	s_or_b32 exec_lo, exec_lo, s25
	s_mov_b32 s0, 0
	s_mov_b32 s1, 0
                                        ; implicit-def: $vgpr4
                                        ; implicit-def: $vgpr2_vgpr3
                                        ; implicit-def: $vgpr0
	s_and_saveexec_b32 s25, s2
	s_cbranch_execz .LBB21_1018
; %bb.923:
	v_cmp_gt_i32_e32 vcc_lo, s21, v26
	s_mov_b32 s2, s26
                                        ; implicit-def: $vgpr4
                                        ; implicit-def: $vgpr2_vgpr3
                                        ; implicit-def: $vgpr0
	s_and_saveexec_b32 s21, vcc_lo
	s_cbranch_execz .LBB21_1017
; %bb.924:
	v_dual_mov_b32 v0, s18 :: v_dual_mov_b32 v1, s19
	v_dual_mov_b32 v2, s13 :: v_dual_mov_b32 v3, v27
	v_mov_b32_e32 v4, v26
	s_getpc_b64 s[0:1]
	s_add_u32 s0, s0, _ZN2at6native6invokeIZZZNS0_12_GLOBAL__N_130modified_bessel_k0_kernel_cudaERNS_18TensorIteratorBaseEENKUlvE_clEvENKUlvE0_clEvEUlfE_i15function_traitsIS7_EEENT1_11result_typeERKT_PrKPcPKT0_PKN3c1010ScalarTypeEi@rel32@lo+4
	s_addc_u32 s1, s1, _ZN2at6native6invokeIZZZNS0_12_GLOBAL__N_130modified_bessel_k0_kernel_cudaERNS_18TensorIteratorBaseEENKUlvE_clEvENKUlvE0_clEvEUlfE_i15function_traitsIS7_EEENT1_11result_typeERKT_PrKPcPKT0_PKN3c1010ScalarTypeEi@rel32@hi+12
	s_delay_alu instid0(SALU_CYCLE_1) | instskip(SKIP_2) | instid1(VALU_DEP_1)
	s_swappc_b64 s[30:31], s[0:1]
	v_mul_lo_u32 v1, v26, s12
	v_and_b32_e32 v4, 0xff, v30
	v_cmp_gt_i16_e32 vcc_lo, 11, v4
	s_delay_alu instid0(VALU_DEP_3) | instskip(SKIP_1) | instid1(VALU_DEP_1)
	v_ashrrev_i32_e32 v3, 31, v1
	v_add_co_u32 v2, s0, s16, v1
	v_add_co_ci_u32_e64 v3, s0, s17, v3, s0
	s_cbranch_vccnz .LBB21_931
; %bb.925:
	v_cmp_lt_i16_e32 vcc_lo, 25, v4
	s_mov_b32 s1, -1
	s_mov_b32 s0, s26
	s_cbranch_vccz .LBB21_975
; %bb.926:
	v_cmp_lt_i16_e32 vcc_lo, 28, v4
	s_mov_b32 s0, s26
	s_cbranch_vccz .LBB21_959
; %bb.927:
	v_cmp_lt_i16_e32 vcc_lo, 43, v4
	;; [unrolled: 4-line block ×3, first 2 shown]
	s_mov_b32 s0, s26
	s_cbranch_vccz .LBB21_949
; %bb.929:
	v_cmp_eq_u16_e32 vcc_lo, 46, v4
	s_mov_b32 s0, -1
	s_cbranch_vccz .LBB21_948
; %bb.930:
	v_bfe_u32 v1, v0, 16, 1
	v_cmp_o_f32_e32 vcc_lo, v0, v0
	s_mov_b32 s0, 0
	s_mov_b32 s1, 0
	s_delay_alu instid0(VALU_DEP_2) | instskip(NEXT) | instid1(VALU_DEP_1)
	v_add3_u32 v1, v0, v1, 0x7fff
	v_lshrrev_b32_e32 v1, 16, v1
	s_delay_alu instid0(VALU_DEP_1)
	v_cndmask_b32_e32 v1, 0x7fc0, v1, vcc_lo
	global_store_b32 v[2:3], v1, off
	s_branch .LBB21_949
.LBB21_931:
	s_mov_b32 s2, 0
	s_mov_b32 s1, -1
	s_mov_b32 s0, s26
	s_branch .LBB21_1016
.LBB21_932:
	s_or_saveexec_b32 s3, s3
                                        ; implicit-def: $sgpr4
	s_delay_alu instid0(SALU_CYCLE_1)
	s_xor_b32 exec_lo, exec_lo, s3
	s_cbranch_execz .LBB21_831
.LBB21_933:
	v_add_f32_e64 v1, 0x46000000, |v0|
	s_and_not1_b32 s2, s2, exec_lo
	s_mov_b32 s4, 0
	s_delay_alu instid0(VALU_DEP_1) | instskip(NEXT) | instid1(VALU_DEP_1)
	v_and_b32_e32 v1, 0xff, v1
	v_cmp_ne_u32_e32 vcc_lo, 0, v1
	s_and_b32 s5, vcc_lo, exec_lo
	s_delay_alu instid0(SALU_CYCLE_1)
	s_or_b32 s2, s2, s5
	s_or_b32 exec_lo, exec_lo, s3
	v_mov_b32_e32 v5, s4
	s_and_saveexec_b32 s3, s2
	s_cbranch_execnz .LBB21_832
	s_branch .LBB21_833
.LBB21_934:
	s_or_saveexec_b32 s5, s5
                                        ; implicit-def: $sgpr6
	s_delay_alu instid0(SALU_CYCLE_1)
	s_xor_b32 exec_lo, exec_lo, s5
	s_cbranch_execz .LBB21_453
.LBB21_935:
	v_add_f32_e64 v5, 0x42800000, |v23|
	s_and_not1_b32 s4, s4, exec_lo
	s_mov_b32 s6, 0
	s_delay_alu instid0(VALU_DEP_1) | instskip(NEXT) | instid1(VALU_DEP_1)
	v_and_b32_e32 v5, 0xff, v5
	v_cmp_ne_u32_e32 vcc_lo, 0, v5
	s_and_b32 s7, vcc_lo, exec_lo
	s_delay_alu instid0(SALU_CYCLE_1)
	s_or_b32 s4, s4, s7
	s_or_b32 exec_lo, exec_lo, s5
	v_mov_b32_e32 v6, s6
	s_and_saveexec_b32 s5, s4
	s_cbranch_execnz .LBB21_454
	s_branch .LBB21_455
.LBB21_936:
	s_or_saveexec_b32 s5, s5
                                        ; implicit-def: $sgpr6
	s_delay_alu instid0(SALU_CYCLE_1)
	s_xor_b32 exec_lo, exec_lo, s5
	s_cbranch_execz .LBB21_520
.LBB21_937:
	v_add_f32_e64 v1, 0x46000000, |v0|
	s_and_not1_b32 s4, s4, exec_lo
	s_mov_b32 s6, 0
	s_delay_alu instid0(VALU_DEP_1) | instskip(NEXT) | instid1(VALU_DEP_1)
	v_and_b32_e32 v1, 0xff, v1
	v_cmp_ne_u32_e32 vcc_lo, 0, v1
	s_and_b32 s7, vcc_lo, exec_lo
	s_delay_alu instid0(SALU_CYCLE_1)
	s_or_b32 s4, s4, s7
	s_or_b32 exec_lo, exec_lo, s5
	v_mov_b32_e32 v5, s6
	s_and_saveexec_b32 s5, s4
	s_cbranch_execnz .LBB21_521
	s_branch .LBB21_522
.LBB21_938:
	s_trap 2
	s_sendmsg_rtn_b32 s0, sendmsg(MSG_RTN_GET_DOORBELL)
	s_mov_b32 ttmp2, m0
	s_waitcnt lgkmcnt(0)
	s_and_b32 s0, s0, 0x3ff
	s_delay_alu instid0(SALU_CYCLE_1) | instskip(NEXT) | instid1(SALU_CYCLE_1)
	s_bitset1_b32 s0, 10
	s_mov_b32 m0, s0
	s_sendmsg sendmsg(MSG_INTERRUPT)
	s_mov_b32 m0, ttmp2
.LBB21_939:                             ; =>This Inner Loop Header: Depth=1
	s_sethalt 5
	s_branch .LBB21_939
.LBB21_940:
	s_cbranch_execnz .LBB21_946
; %bb.941:
	s_mov_b32 s2, 0
	s_or_b32 s1, s1, exec_lo
	s_branch .LBB21_566
.LBB21_942:
	s_or_saveexec_b32 s3, s3
                                        ; implicit-def: $sgpr4
	s_delay_alu instid0(SALU_CYCLE_1)
	s_xor_b32 exec_lo, exec_lo, s3
	s_cbranch_execz .LBB21_844
.LBB21_943:
	v_add_f32_e64 v1, 0x42800000, |v0|
	s_and_not1_b32 s2, s2, exec_lo
	s_mov_b32 s4, 0
	s_delay_alu instid0(VALU_DEP_1) | instskip(NEXT) | instid1(VALU_DEP_1)
	v_and_b32_e32 v1, 0xff, v1
	v_cmp_ne_u32_e32 vcc_lo, 0, v1
	s_and_b32 s5, vcc_lo, exec_lo
	s_delay_alu instid0(SALU_CYCLE_1)
	s_or_b32 s2, s2, s5
	s_or_b32 exec_lo, exec_lo, s3
	v_mov_b32_e32 v5, s4
	s_and_saveexec_b32 s3, s2
	s_cbranch_execnz .LBB21_845
	s_branch .LBB21_846
.LBB21_944:
	s_or_saveexec_b32 s4, s4
                                        ; implicit-def: $sgpr5
	s_delay_alu instid0(SALU_CYCLE_1)
	s_xor_b32 exec_lo, exec_lo, s4
	s_cbranch_execz .LBB21_532
.LBB21_945:
	v_add_f32_e64 v1, 0x42800000, |v0|
	s_and_not1_b32 s3, s3, exec_lo
	s_mov_b32 s5, 0
	s_delay_alu instid0(VALU_DEP_1) | instskip(NEXT) | instid1(VALU_DEP_1)
	v_and_b32_e32 v1, 0xff, v1
	v_cmp_ne_u32_e32 vcc_lo, 0, v1
	s_and_b32 s6, vcc_lo, exec_lo
	s_delay_alu instid0(SALU_CYCLE_1)
	s_or_b32 s3, s3, s6
	s_or_b32 exec_lo, exec_lo, s4
	v_mov_b32_e32 v5, s5
	s_and_saveexec_b32 s4, s3
	s_cbranch_execnz .LBB21_533
	s_branch .LBB21_534
.LBB21_946:
	s_trap 2
	s_sendmsg_rtn_b32 s0, sendmsg(MSG_RTN_GET_DOORBELL)
	s_mov_b32 ttmp2, m0
	s_waitcnt lgkmcnt(0)
	s_and_b32 s0, s0, 0x3ff
	s_delay_alu instid0(SALU_CYCLE_1) | instskip(NEXT) | instid1(SALU_CYCLE_1)
	s_bitset1_b32 s0, 10
	s_mov_b32 m0, s0
	s_sendmsg sendmsg(MSG_INTERRUPT)
	s_mov_b32 m0, ttmp2
.LBB21_947:                             ; =>This Inner Loop Header: Depth=1
	s_sethalt 5
	s_branch .LBB21_947
.LBB21_948:
	s_mov_b32 s1, 0
.LBB21_949:
	s_delay_alu instid0(SALU_CYCLE_1)
	s_and_b32 vcc_lo, exec_lo, s1
	s_cbranch_vccz .LBB21_954
; %bb.950:
	v_cmp_eq_u16_e32 vcc_lo, 44, v4
	s_mov_b32 s0, -1
	s_cbranch_vccz .LBB21_954
; %bb.951:
	v_bfe_u32 v5, v0, 23, 8
	v_mov_b32_e32 v1, 0xff
	s_mov_b32 s1, exec_lo
	s_delay_alu instid0(VALU_DEP_2)
	v_cmpx_ne_u32_e32 0xff, v5
; %bb.952:
	v_and_b32_e32 v1, 0x400000, v0
	v_and_or_b32 v5, 0x3fffff, v0, v5
	s_delay_alu instid0(VALU_DEP_2) | instskip(NEXT) | instid1(VALU_DEP_2)
	v_cmp_ne_u32_e32 vcc_lo, 0, v1
	v_cmp_ne_u32_e64 s0, 0, v5
	v_lshrrev_b32_e32 v1, 23, v0
	s_delay_alu instid0(VALU_DEP_2) | instskip(NEXT) | instid1(SALU_CYCLE_1)
	s_and_b32 s0, vcc_lo, s0
	v_cndmask_b32_e64 v5, 0, 1, s0
	s_delay_alu instid0(VALU_DEP_1)
	v_add_nc_u32_e32 v1, v1, v5
; %bb.953:
	s_or_b32 exec_lo, exec_lo, s1
	s_mov_b32 s0, 0
	global_store_b8 v[2:3], v1, off
.LBB21_954:
	s_mov_b32 s1, 0
.LBB21_955:
	s_delay_alu instid0(SALU_CYCLE_1)
	s_and_b32 vcc_lo, exec_lo, s1
	s_cbranch_vccz .LBB21_958
; %bb.956:
	v_cmp_eq_u16_e32 vcc_lo, 29, v4
	s_mov_b32 s0, -1
	s_cbranch_vccz .LBB21_958
; %bb.957:
	v_trunc_f32_e32 v1, v0
	s_mov_b32 s0, 0
	s_mov_b32 s1, 0
	s_delay_alu instid0(VALU_DEP_1) | instskip(NEXT) | instid1(VALU_DEP_1)
	v_mul_f32_e32 v5, 0x2f800000, v1
	v_floor_f32_e32 v5, v5
	s_delay_alu instid0(VALU_DEP_1) | instskip(SKIP_1) | instid1(VALU_DEP_2)
	v_fmamk_f32 v1, v5, 0xcf800000, v1
	v_cvt_u32_f32_e32 v6, v5
	v_cvt_u32_f32_e32 v5, v1
	global_store_b64 v[2:3], v[5:6], off
	s_branch .LBB21_959
.LBB21_958:
	s_mov_b32 s1, 0
.LBB21_959:
	s_delay_alu instid0(SALU_CYCLE_1)
	s_and_b32 vcc_lo, exec_lo, s1
	s_cbranch_vccz .LBB21_974
; %bb.960:
	v_cmp_gt_i16_e32 vcc_lo, 27, v4
	s_mov_b32 s1, -1
	s_cbranch_vccnz .LBB21_966
; %bb.961:
	v_cmp_lt_i16_e32 vcc_lo, 27, v4
	s_cbranch_vccz .LBB21_963
; %bb.962:
	v_cvt_u32_f32_e32 v1, v0
	s_mov_b32 s1, 0
	global_store_b32 v[2:3], v1, off
.LBB21_963:
	s_and_not1_b32 vcc_lo, exec_lo, s1
	s_cbranch_vccnz .LBB21_965
; %bb.964:
	v_cvt_u32_f32_e32 v1, v0
	global_store_b16 v[2:3], v1, off
.LBB21_965:
	s_mov_b32 s1, 0
.LBB21_966:
	s_delay_alu instid0(SALU_CYCLE_1)
	s_and_not1_b32 vcc_lo, exec_lo, s1
	s_cbranch_vccnz .LBB21_974
; %bb.967:
	v_and_b32_e32 v1, 0x7fffffff, v0
	v_mov_b32_e32 v5, 0x80
	s_mov_b32 s1, exec_lo
	s_delay_alu instid0(VALU_DEP_2)
	v_cmpx_gt_u32_e32 0x43800000, v1
	s_cbranch_execz .LBB21_973
; %bb.968:
	v_cmp_lt_u32_e32 vcc_lo, 0x3bffffff, v1
	s_mov_b32 s2, 0
                                        ; implicit-def: $vgpr1
	s_and_saveexec_b32 s3, vcc_lo
	s_delay_alu instid0(SALU_CYCLE_1)
	s_xor_b32 s3, exec_lo, s3
	s_cbranch_execz .LBB21_1024
; %bb.969:
	v_bfe_u32 v1, v0, 20, 1
	s_mov_b32 s2, exec_lo
	s_delay_alu instid0(VALU_DEP_1) | instskip(NEXT) | instid1(VALU_DEP_1)
	v_add3_u32 v1, v0, v1, 0x487ffff
	v_lshrrev_b32_e32 v1, 20, v1
	s_or_saveexec_b32 s3, s3
                                        ; implicit-def: $sgpr4
	s_delay_alu instid0(SALU_CYCLE_1)
	s_xor_b32 exec_lo, exec_lo, s3
	s_cbranch_execnz .LBB21_1025
.LBB21_970:
	s_or_b32 exec_lo, exec_lo, s3
	v_mov_b32_e32 v5, s4
	s_and_saveexec_b32 s3, s2
.LBB21_971:
	v_lshrrev_b32_e32 v5, 24, v0
	s_delay_alu instid0(VALU_DEP_1)
	v_and_or_b32 v5, 0x80, v5, v1
.LBB21_972:
	s_or_b32 exec_lo, exec_lo, s3
.LBB21_973:
	s_delay_alu instid0(SALU_CYCLE_1)
	s_or_b32 exec_lo, exec_lo, s1
	global_store_b8 v[2:3], v5, off
.LBB21_974:
	s_mov_b32 s1, 0
.LBB21_975:
	s_delay_alu instid0(SALU_CYCLE_1)
	s_and_b32 vcc_lo, exec_lo, s1
	s_mov_b32 s1, 0
	s_cbranch_vccz .LBB21_1015
; %bb.976:
	v_cmp_lt_i16_e32 vcc_lo, 22, v4
	s_mov_b32 s2, -1
	s_cbranch_vccz .LBB21_1008
; %bb.977:
	v_cmp_gt_i16_e32 vcc_lo, 24, v4
	s_cbranch_vccnz .LBB21_997
; %bb.978:
	v_cmp_lt_i16_e32 vcc_lo, 24, v4
	s_cbranch_vccz .LBB21_986
; %bb.979:
	v_and_b32_e32 v1, 0x7fffffff, v0
	v_mov_b32_e32 v5, 0x80
	s_mov_b32 s2, exec_lo
	s_delay_alu instid0(VALU_DEP_2)
	v_cmpx_gt_u32_e32 0x47800000, v1
	s_cbranch_execz .LBB21_985
; %bb.980:
	v_cmp_lt_u32_e32 vcc_lo, 0x37ffffff, v1
	s_mov_b32 s3, 0
                                        ; implicit-def: $vgpr1
	s_and_saveexec_b32 s4, vcc_lo
	s_delay_alu instid0(SALU_CYCLE_1)
	s_xor_b32 s4, exec_lo, s4
	s_cbranch_execz .LBB21_1026
; %bb.981:
	v_bfe_u32 v1, v0, 21, 1
	s_mov_b32 s3, exec_lo
	s_delay_alu instid0(VALU_DEP_1) | instskip(NEXT) | instid1(VALU_DEP_1)
	v_add3_u32 v1, v0, v1, 0x88fffff
	v_lshrrev_b32_e32 v1, 21, v1
	s_or_saveexec_b32 s4, s4
                                        ; implicit-def: $sgpr5
	s_delay_alu instid0(SALU_CYCLE_1)
	s_xor_b32 exec_lo, exec_lo, s4
	s_cbranch_execnz .LBB21_1027
.LBB21_982:
	s_or_b32 exec_lo, exec_lo, s4
	v_mov_b32_e32 v5, s5
	s_and_saveexec_b32 s4, s3
.LBB21_983:
	v_lshrrev_b32_e32 v5, 24, v0
	s_delay_alu instid0(VALU_DEP_1)
	v_and_or_b32 v5, 0x80, v5, v1
.LBB21_984:
	s_or_b32 exec_lo, exec_lo, s4
.LBB21_985:
	s_delay_alu instid0(SALU_CYCLE_1)
	s_or_b32 exec_lo, exec_lo, s2
	s_mov_b32 s2, 0
	global_store_b8 v[2:3], v5, off
.LBB21_986:
	s_and_b32 vcc_lo, exec_lo, s2
	s_cbranch_vccz .LBB21_996
; %bb.987:
	v_and_b32_e32 v5, 0x7fffffff, v0
	s_mov_b32 s2, exec_lo
                                        ; implicit-def: $vgpr1
	s_delay_alu instid0(VALU_DEP_1)
	v_cmpx_gt_u32_e32 0x43f00000, v5
	s_xor_b32 s2, exec_lo, s2
	s_cbranch_execz .LBB21_993
; %bb.988:
	s_mov_b32 s3, exec_lo
                                        ; implicit-def: $vgpr1
	v_cmpx_lt_u32_e32 0x3c7fffff, v5
	s_xor_b32 s3, exec_lo, s3
; %bb.989:
	v_bfe_u32 v1, v0, 20, 1
	s_delay_alu instid0(VALU_DEP_1) | instskip(NEXT) | instid1(VALU_DEP_1)
	v_add3_u32 v1, v0, v1, 0x407ffff
	v_and_b32_e32 v5, 0xff00000, v1
	v_lshrrev_b32_e32 v1, 20, v1
	s_delay_alu instid0(VALU_DEP_2) | instskip(NEXT) | instid1(VALU_DEP_2)
	v_cmp_ne_u32_e32 vcc_lo, 0x7f00000, v5
	v_cndmask_b32_e32 v1, 0x7e, v1, vcc_lo
; %bb.990:
	s_and_not1_saveexec_b32 s3, s3
; %bb.991:
	v_add_f32_e64 v1, 0x46800000, |v0|
; %bb.992:
	s_or_b32 exec_lo, exec_lo, s3
                                        ; implicit-def: $vgpr5
.LBB21_993:
	s_and_not1_saveexec_b32 s2, s2
; %bb.994:
	v_mov_b32_e32 v1, 0x7f
	v_cmp_lt_u32_e32 vcc_lo, 0x7f800000, v5
	s_delay_alu instid0(VALU_DEP_2)
	v_cndmask_b32_e32 v1, 0x7e, v1, vcc_lo
; %bb.995:
	s_or_b32 exec_lo, exec_lo, s2
	v_lshrrev_b32_e32 v5, 24, v0
	s_delay_alu instid0(VALU_DEP_1)
	v_and_or_b32 v1, 0x80, v5, v1
	global_store_b8 v[2:3], v1, off
.LBB21_996:
	s_mov_b32 s2, 0
.LBB21_997:
	s_delay_alu instid0(SALU_CYCLE_1)
	s_and_not1_b32 vcc_lo, exec_lo, s2
	s_cbranch_vccnz .LBB21_1007
; %bb.998:
	v_and_b32_e32 v5, 0x7fffffff, v0
	s_mov_b32 s2, exec_lo
                                        ; implicit-def: $vgpr1
	s_delay_alu instid0(VALU_DEP_1)
	v_cmpx_gt_u32_e32 0x47800000, v5
	s_xor_b32 s2, exec_lo, s2
	s_cbranch_execz .LBB21_1004
; %bb.999:
	s_mov_b32 s3, exec_lo
                                        ; implicit-def: $vgpr1
	v_cmpx_lt_u32_e32 0x387fffff, v5
	s_xor_b32 s3, exec_lo, s3
; %bb.1000:
	v_bfe_u32 v1, v0, 21, 1
	s_delay_alu instid0(VALU_DEP_1) | instskip(NEXT) | instid1(VALU_DEP_1)
	v_add3_u32 v1, v0, v1, 0x80fffff
	v_lshrrev_b32_e32 v1, 21, v1
; %bb.1001:
	s_and_not1_saveexec_b32 s3, s3
; %bb.1002:
	v_add_f32_e64 v1, 0x43000000, |v0|
; %bb.1003:
	s_or_b32 exec_lo, exec_lo, s3
                                        ; implicit-def: $vgpr5
.LBB21_1004:
	s_and_not1_saveexec_b32 s2, s2
; %bb.1005:
	v_mov_b32_e32 v1, 0x7f
	v_cmp_lt_u32_e32 vcc_lo, 0x7f800000, v5
	s_delay_alu instid0(VALU_DEP_2)
	v_cndmask_b32_e32 v1, 0x7c, v1, vcc_lo
; %bb.1006:
	s_or_b32 exec_lo, exec_lo, s2
	v_lshrrev_b32_e32 v5, 24, v0
	s_delay_alu instid0(VALU_DEP_1)
	v_and_or_b32 v1, 0x80, v5, v1
	global_store_b8 v[2:3], v1, off
.LBB21_1007:
	s_mov_b32 s2, 0
.LBB21_1008:
	s_delay_alu instid0(SALU_CYCLE_1)
	s_and_not1_b32 vcc_lo, exec_lo, s2
	s_mov_b32 s2, 0
	s_cbranch_vccnz .LBB21_1016
; %bb.1009:
	v_cmp_lt_i16_e32 vcc_lo, 14, v4
	s_mov_b32 s2, -1
	s_cbranch_vccz .LBB21_1013
; %bb.1010:
	v_cmp_eq_u16_e32 vcc_lo, 15, v4
	s_mov_b32 s0, -1
	s_cbranch_vccz .LBB21_1012
; %bb.1011:
	v_bfe_u32 v1, v0, 16, 1
	v_cmp_o_f32_e32 vcc_lo, v0, v0
	s_mov_b32 s0, 0
	s_delay_alu instid0(VALU_DEP_2) | instskip(NEXT) | instid1(VALU_DEP_1)
	v_add3_u32 v1, v0, v1, 0x7fff
	v_lshrrev_b32_e32 v1, 16, v1
	s_delay_alu instid0(VALU_DEP_1)
	v_cndmask_b32_e32 v1, 0x7fc0, v1, vcc_lo
	global_store_b16 v[2:3], v1, off
.LBB21_1012:
	s_mov_b32 s2, 0
.LBB21_1013:
	s_delay_alu instid0(SALU_CYCLE_1)
	s_and_b32 vcc_lo, exec_lo, s2
	s_mov_b32 s2, 0
	s_cbranch_vccz .LBB21_1016
; %bb.1014:
	v_cmp_ne_u16_e32 vcc_lo, 11, v4
	s_and_not1_b32 s0, s0, exec_lo
	s_mov_b32 s2, -1
	s_and_b32 s3, vcc_lo, exec_lo
	s_delay_alu instid0(SALU_CYCLE_1)
	s_or_b32 s0, s0, s3
	s_branch .LBB21_1016
.LBB21_1015:
	s_mov_b32 s2, 0
.LBB21_1016:
	s_and_not1_b32 s3, s26, exec_lo
	s_and_b32 s4, s0, exec_lo
	s_and_b32 s1, s1, exec_lo
	;; [unrolled: 1-line block ×3, first 2 shown]
	s_or_b32 s2, s3, s4
.LBB21_1017:
	s_or_b32 exec_lo, exec_lo, s21
	s_delay_alu instid0(SALU_CYCLE_1)
	s_and_not1_b32 s3, s26, exec_lo
	s_and_b32 s2, s2, exec_lo
	s_and_b32 s1, s1, exec_lo
	;; [unrolled: 1-line block ×3, first 2 shown]
	s_or_b32 s26, s3, s2
.LBB21_1018:
	s_or_b32 exec_lo, exec_lo, s25
	s_delay_alu instid0(SALU_CYCLE_1)
	s_and_not1_b32 s2, s23, exec_lo
	s_and_b32 s3, s26, exec_lo
	s_and_b32 s1, s1, exec_lo
	;; [unrolled: 1-line block ×3, first 2 shown]
	s_or_b32 s23, s2, s3
.LBB21_1019:
	s_or_b32 exec_lo, exec_lo, s24
	s_delay_alu instid0(SALU_CYCLE_1)
	s_and_not1_b32 s2, s20, exec_lo
	s_and_b32 s3, s23, exec_lo
	s_and_b32 s1, s1, exec_lo
	;; [unrolled: 1-line block ×3, first 2 shown]
	s_or_b32 s20, s2, s3
	s_or_b32 exec_lo, exec_lo, s22
	s_mov_b32 s0, 0
	s_and_saveexec_b32 s2, s20
	s_cbranch_execz .LBB21_134
.LBB21_1020:
	s_cbranch_execnz .LBB21_1022
; %bb.1021:
	s_mov_b32 s0, exec_lo
	s_and_not1_b32 s23, s23, exec_lo
	s_or_b32 exec_lo, exec_lo, s2
	s_and_saveexec_b32 s2, s23
	s_delay_alu instid0(SALU_CYCLE_1)
	s_xor_b32 s2, exec_lo, s2
	s_cbranch_execnz .LBB21_135
	s_branch .LBB21_136
.LBB21_1022:
	s_trap 2
	s_sendmsg_rtn_b32 s0, sendmsg(MSG_RTN_GET_DOORBELL)
	s_mov_b32 ttmp2, m0
	s_waitcnt lgkmcnt(0)
	s_and_b32 s0, s0, 0x3ff
	s_delay_alu instid0(SALU_CYCLE_1) | instskip(NEXT) | instid1(SALU_CYCLE_1)
	s_bitset1_b32 s0, 10
	s_mov_b32 m0, s0
	s_sendmsg sendmsg(MSG_INTERRUPT)
	s_mov_b32 m0, ttmp2
.LBB21_1023:                            ; =>This Inner Loop Header: Depth=1
	s_sethalt 5
	s_branch .LBB21_1023
.LBB21_1024:
	s_or_saveexec_b32 s3, s3
                                        ; implicit-def: $sgpr4
	s_delay_alu instid0(SALU_CYCLE_1)
	s_xor_b32 exec_lo, exec_lo, s3
	s_cbranch_execz .LBB21_970
.LBB21_1025:
	v_add_f32_e64 v1, 0x46000000, |v0|
	s_and_not1_b32 s2, s2, exec_lo
	s_mov_b32 s4, 0
	s_delay_alu instid0(VALU_DEP_1) | instskip(NEXT) | instid1(VALU_DEP_1)
	v_and_b32_e32 v1, 0xff, v1
	v_cmp_ne_u32_e32 vcc_lo, 0, v1
	s_and_b32 s5, vcc_lo, exec_lo
	s_delay_alu instid0(SALU_CYCLE_1)
	s_or_b32 s2, s2, s5
	s_or_b32 exec_lo, exec_lo, s3
	v_mov_b32_e32 v5, s4
	s_and_saveexec_b32 s3, s2
	s_cbranch_execnz .LBB21_971
	s_branch .LBB21_972
.LBB21_1026:
	s_or_saveexec_b32 s4, s4
                                        ; implicit-def: $sgpr5
	s_delay_alu instid0(SALU_CYCLE_1)
	s_xor_b32 exec_lo, exec_lo, s4
	s_cbranch_execz .LBB21_982
.LBB21_1027:
	v_add_f32_e64 v1, 0x42800000, |v0|
	s_and_not1_b32 s3, s3, exec_lo
	s_mov_b32 s5, 0
	s_delay_alu instid0(VALU_DEP_1) | instskip(NEXT) | instid1(VALU_DEP_1)
	v_and_b32_e32 v1, 0xff, v1
	v_cmp_ne_u32_e32 vcc_lo, 0, v1
	s_and_b32 s6, vcc_lo, exec_lo
	s_delay_alu instid0(SALU_CYCLE_1)
	s_or_b32 s3, s3, s6
	s_or_b32 exec_lo, exec_lo, s4
	v_mov_b32_e32 v5, s5
	s_and_saveexec_b32 s4, s3
	s_cbranch_execnz .LBB21_983
	s_branch .LBB21_984
	.section	.rodata,"a",@progbits
	.p2align	6, 0x0
	.amdhsa_kernel _ZN2at6native32elementwise_kernel_manual_unrollILi128ELi4EZNS0_15gpu_kernel_implIZZZNS0_12_GLOBAL__N_130modified_bessel_k0_kernel_cudaERNS_18TensorIteratorBaseEENKUlvE_clEvENKUlvE0_clEvEUlfE_EEvS5_RKT_EUlibE_EEviT1_
		.amdhsa_group_segment_fixed_size 0
		.amdhsa_private_segment_fixed_size 0
		.amdhsa_kernarg_size 40
		.amdhsa_user_sgpr_count 15
		.amdhsa_user_sgpr_dispatch_ptr 0
		.amdhsa_user_sgpr_queue_ptr 0
		.amdhsa_user_sgpr_kernarg_segment_ptr 1
		.amdhsa_user_sgpr_dispatch_id 0
		.amdhsa_user_sgpr_private_segment_size 0
		.amdhsa_wavefront_size32 1
		.amdhsa_uses_dynamic_stack 0
		.amdhsa_enable_private_segment 0
		.amdhsa_system_sgpr_workgroup_id_x 1
		.amdhsa_system_sgpr_workgroup_id_y 0
		.amdhsa_system_sgpr_workgroup_id_z 0
		.amdhsa_system_sgpr_workgroup_info 0
		.amdhsa_system_vgpr_workitem_id 0
		.amdhsa_next_free_vgpr 31
		.amdhsa_next_free_sgpr 33
		.amdhsa_reserve_vcc 1
		.amdhsa_float_round_mode_32 0
		.amdhsa_float_round_mode_16_64 0
		.amdhsa_float_denorm_mode_32 3
		.amdhsa_float_denorm_mode_16_64 3
		.amdhsa_dx10_clamp 1
		.amdhsa_ieee_mode 1
		.amdhsa_fp16_overflow 0
		.amdhsa_workgroup_processor_mode 1
		.amdhsa_memory_ordered 1
		.amdhsa_forward_progress 0
		.amdhsa_shared_vgpr_count 0
		.amdhsa_exception_fp_ieee_invalid_op 0
		.amdhsa_exception_fp_denorm_src 0
		.amdhsa_exception_fp_ieee_div_zero 0
		.amdhsa_exception_fp_ieee_overflow 0
		.amdhsa_exception_fp_ieee_underflow 0
		.amdhsa_exception_fp_ieee_inexact 0
		.amdhsa_exception_int_div_zero 0
	.end_amdhsa_kernel
	.section	.text._ZN2at6native32elementwise_kernel_manual_unrollILi128ELi4EZNS0_15gpu_kernel_implIZZZNS0_12_GLOBAL__N_130modified_bessel_k0_kernel_cudaERNS_18TensorIteratorBaseEENKUlvE_clEvENKUlvE0_clEvEUlfE_EEvS5_RKT_EUlibE_EEviT1_,"axG",@progbits,_ZN2at6native32elementwise_kernel_manual_unrollILi128ELi4EZNS0_15gpu_kernel_implIZZZNS0_12_GLOBAL__N_130modified_bessel_k0_kernel_cudaERNS_18TensorIteratorBaseEENKUlvE_clEvENKUlvE0_clEvEUlfE_EEvS5_RKT_EUlibE_EEviT1_,comdat
.Lfunc_end21:
	.size	_ZN2at6native32elementwise_kernel_manual_unrollILi128ELi4EZNS0_15gpu_kernel_implIZZZNS0_12_GLOBAL__N_130modified_bessel_k0_kernel_cudaERNS_18TensorIteratorBaseEENKUlvE_clEvENKUlvE0_clEvEUlfE_EEvS5_RKT_EUlibE_EEviT1_, .Lfunc_end21-_ZN2at6native32elementwise_kernel_manual_unrollILi128ELi4EZNS0_15gpu_kernel_implIZZZNS0_12_GLOBAL__N_130modified_bessel_k0_kernel_cudaERNS_18TensorIteratorBaseEENKUlvE_clEvENKUlvE0_clEvEUlfE_EEvS5_RKT_EUlibE_EEviT1_
                                        ; -- End function
	.section	.AMDGPU.csdata,"",@progbits
; Kernel info:
; codeLenInByte = 18448
; NumSgprs: 35
; NumVgprs: 31
; ScratchSize: 0
; MemoryBound: 0
; FloatMode: 240
; IeeeMode: 1
; LDSByteSize: 0 bytes/workgroup (compile time only)
; SGPRBlocks: 4
; VGPRBlocks: 3
; NumSGPRsForWavesPerEU: 35
; NumVGPRsForWavesPerEU: 31
; Occupancy: 16
; WaveLimiterHint : 0
; COMPUTE_PGM_RSRC2:SCRATCH_EN: 0
; COMPUTE_PGM_RSRC2:USER_SGPR: 15
; COMPUTE_PGM_RSRC2:TRAP_HANDLER: 0
; COMPUTE_PGM_RSRC2:TGID_X_EN: 1
; COMPUTE_PGM_RSRC2:TGID_Y_EN: 0
; COMPUTE_PGM_RSRC2:TGID_Z_EN: 0
; COMPUTE_PGM_RSRC2:TIDIG_COMP_CNT: 0
	.text
	.p2align	2                               ; -- Begin function _ZN2at6native6invokeIZZZNS0_12_GLOBAL__N_130modified_bessel_k0_kernel_cudaERNS_18TensorIteratorBaseEENKUlvE_clEvENKUlvE0_clEvEUlfE_j15function_traitsIS7_EEENT1_11result_typeERKT_PrKPcPKT0_PKN3c1010ScalarTypeEi
	.type	_ZN2at6native6invokeIZZZNS0_12_GLOBAL__N_130modified_bessel_k0_kernel_cudaERNS_18TensorIteratorBaseEENKUlvE_clEvENKUlvE0_clEvEUlfE_j15function_traitsIS7_EEENT1_11result_typeERKT_PrKPcPKT0_PKN3c1010ScalarTypeEi,@function
_ZN2at6native6invokeIZZZNS0_12_GLOBAL__N_130modified_bessel_k0_kernel_cudaERNS_18TensorIteratorBaseEENKUlvE_clEvENKUlvE0_clEvEUlfE_j15function_traitsIS7_EEENT1_11result_typeERKT_PrKPcPKT0_PKN3c1010ScalarTypeEi: ; @_ZN2at6native6invokeIZZZNS0_12_GLOBAL__N_130modified_bessel_k0_kernel_cudaERNS_18TensorIteratorBaseEENKUlvE_clEvENKUlvE0_clEvEUlfE_j15function_traitsIS7_EEENT1_11result_typeERKT_PrKPcPKT0_PKN3c1010ScalarTypeEi
; %bb.0:
	s_waitcnt vmcnt(0) expcnt(0) lgkmcnt(0)
	v_add_co_u32 v0, vcc_lo, v0, v2
	v_and_b32_e32 v3, 0xff, v3
	v_add_co_ci_u32_e32 v1, vcc_lo, 0, v1, vcc_lo
	s_mov_b32 s2, 0
	s_mov_b32 s0, exec_lo
                                        ; implicit-def: $vgpr2
	s_delay_alu instid0(VALU_DEP_2)
	v_cmpx_lt_i16_e32 10, v3
	s_xor_b32 s0, exec_lo, s0
	s_cbranch_execz .LBB22_7
; %bb.1:
	s_mov_b32 s1, 0
	s_mov_b32 s4, 0
	s_mov_b32 s3, exec_lo
                                        ; implicit-def: $vgpr2
	v_cmpx_lt_i16_e32 25, v3
	s_xor_b32 s3, exec_lo, s3
	s_cbranch_execnz .LBB22_64
; %bb.2:
	s_and_not1_saveexec_b32 s3, s3
	s_cbranch_execnz .LBB22_95
.LBB22_3:
	s_or_b32 exec_lo, exec_lo, s3
	s_and_saveexec_b32 s3, s4
	s_cbranch_execnz .LBB22_118
.LBB22_4:
	s_or_b32 exec_lo, exec_lo, s3
	s_and_saveexec_b32 s3, s1
	s_delay_alu instid0(SALU_CYCLE_1)
	s_xor_b32 s1, exec_lo, s3
	s_cbranch_execz .LBB22_6
.LBB22_5:
	flat_load_u8 v0, v[0:1]
	s_or_b32 s2, s2, exec_lo
	s_waitcnt vmcnt(0) lgkmcnt(0)
	v_cmp_ne_u16_e32 vcc_lo, 0, v0
	v_cndmask_b32_e64 v2, 0, 1.0, vcc_lo
.LBB22_6:
	s_or_b32 exec_lo, exec_lo, s1
	s_delay_alu instid0(SALU_CYCLE_1)
	s_and_b32 s2, s2, exec_lo
                                        ; implicit-def: $vgpr3
                                        ; implicit-def: $vgpr0_vgpr1
.LBB22_7:
	s_and_not1_saveexec_b32 s0, s0
	s_cbranch_execnz .LBB22_10
; %bb.8:
	s_or_b32 exec_lo, exec_lo, s0
                                        ; implicit-def: $vgpr0
	s_and_saveexec_b32 s1, s2
	s_cbranch_execnz .LBB22_51
.LBB22_9:
	s_or_b32 exec_lo, exec_lo, s1
	s_waitcnt vmcnt(0) lgkmcnt(0)
	s_setpc_b64 s[30:31]
.LBB22_10:
	s_mov_b32 s1, exec_lo
                                        ; implicit-def: $vgpr2
	v_cmpx_lt_i16_e32 4, v3
	s_xor_b32 s1, exec_lo, s1
	s_cbranch_execz .LBB22_32
; %bb.11:
	s_mov_b32 s3, exec_lo
                                        ; implicit-def: $vgpr2
	v_cmpx_lt_i16_e32 7, v3
	s_xor_b32 s3, exec_lo, s3
	s_cbranch_execz .LBB22_21
; %bb.12:
	;; [unrolled: 6-line block ×4, first 2 shown]
	flat_load_b64 v[0:1], v[0:1]
	s_waitcnt vmcnt(0) lgkmcnt(0)
	v_cvt_f32_f64_e32 v2, v[0:1]
                                        ; implicit-def: $vgpr0_vgpr1
.LBB22_15:
	s_and_not1_saveexec_b32 s5, s5
	s_cbranch_execz .LBB22_17
; %bb.16:
	flat_load_b32 v2, v[0:1]
.LBB22_17:
	s_or_b32 exec_lo, exec_lo, s5
                                        ; implicit-def: $vgpr0_vgpr1
.LBB22_18:
	s_and_not1_saveexec_b32 s4, s4
	s_cbranch_execz .LBB22_20
; %bb.19:
	flat_load_b32 v0, v[0:1]
	s_waitcnt vmcnt(0) lgkmcnt(0)
	v_cvt_f32_f16_e32 v2, v0
.LBB22_20:
	s_or_b32 exec_lo, exec_lo, s4
                                        ; implicit-def: $vgpr0_vgpr1
                                        ; implicit-def: $vgpr3
.LBB22_21:
	s_and_not1_saveexec_b32 s3, s3
	s_cbranch_execz .LBB22_31
; %bb.22:
	s_mov_b32 s4, exec_lo
                                        ; implicit-def: $vgpr2
	v_cmpx_lt_i16_e32 5, v3
	s_xor_b32 s4, exec_lo, s4
	s_cbranch_execz .LBB22_28
; %bb.23:
	s_mov_b32 s5, exec_lo
                                        ; implicit-def: $vgpr2
	v_cmpx_lt_i16_e32 6, v3
	s_xor_b32 s5, exec_lo, s5
	s_cbranch_execz .LBB22_25
; %bb.24:
	flat_load_b64 v[0:1], v[0:1]
	s_waitcnt vmcnt(0) lgkmcnt(0)
	v_cvt_f32_f64_e32 v2, v[0:1]
                                        ; implicit-def: $vgpr0_vgpr1
.LBB22_25:
	s_and_not1_saveexec_b32 s5, s5
	s_cbranch_execz .LBB22_27
; %bb.26:
	s_waitcnt vmcnt(0) lgkmcnt(0)
	flat_load_b32 v2, v[0:1]
.LBB22_27:
	s_or_b32 exec_lo, exec_lo, s5
                                        ; implicit-def: $vgpr0_vgpr1
.LBB22_28:
	s_and_not1_saveexec_b32 s4, s4
	s_cbranch_execz .LBB22_30
; %bb.29:
	flat_load_u16 v0, v[0:1]
	s_waitcnt vmcnt(0) lgkmcnt(0)
	v_cvt_f32_f16_e32 v2, v0
.LBB22_30:
	s_or_b32 exec_lo, exec_lo, s4
.LBB22_31:
	s_delay_alu instid0(SALU_CYCLE_1)
	s_or_b32 exec_lo, exec_lo, s3
                                        ; implicit-def: $vgpr3
                                        ; implicit-def: $vgpr0_vgpr1
.LBB22_32:
	s_and_not1_saveexec_b32 s1, s1
	s_cbranch_execz .LBB22_50
; %bb.33:
	s_mov_b32 s3, exec_lo
                                        ; implicit-def: $vgpr2
	v_cmpx_lt_i16_e32 1, v3
	s_xor_b32 s3, exec_lo, s3
	s_cbranch_execz .LBB22_43
; %bb.34:
	s_mov_b32 s4, exec_lo
                                        ; implicit-def: $vgpr2
	v_cmpx_lt_i16_e32 2, v3
	s_xor_b32 s4, exec_lo, s4
	;; [unrolled: 6-line block ×3, first 2 shown]
	s_cbranch_execz .LBB22_37
; %bb.36:
	flat_load_b64 v[0:1], v[0:1]
	s_waitcnt vmcnt(0) lgkmcnt(0)
	v_xor_b32_e32 v2, v0, v1
	v_cls_i32_e32 v3, v1
	s_delay_alu instid0(VALU_DEP_2) | instskip(NEXT) | instid1(VALU_DEP_2)
	v_ashrrev_i32_e32 v2, 31, v2
	v_add_nc_u32_e32 v3, -1, v3
	s_delay_alu instid0(VALU_DEP_2) | instskip(NEXT) | instid1(VALU_DEP_1)
	v_add_nc_u32_e32 v2, 32, v2
	v_min_u32_e32 v2, v3, v2
	s_delay_alu instid0(VALU_DEP_1) | instskip(NEXT) | instid1(VALU_DEP_1)
	v_lshlrev_b64 v[0:1], v2, v[0:1]
	v_min_u32_e32 v0, 1, v0
	s_delay_alu instid0(VALU_DEP_1) | instskip(SKIP_1) | instid1(VALU_DEP_2)
	v_or_b32_e32 v0, v1, v0
	v_sub_nc_u32_e32 v1, 32, v2
	v_cvt_f32_i32_e32 v0, v0
	s_delay_alu instid0(VALU_DEP_1)
	v_ldexp_f32 v2, v0, v1
                                        ; implicit-def: $vgpr0_vgpr1
.LBB22_37:
	s_and_not1_saveexec_b32 s5, s5
	s_cbranch_execz .LBB22_39
; %bb.38:
	flat_load_b32 v0, v[0:1]
	s_waitcnt vmcnt(0) lgkmcnt(0)
	v_cvt_f32_i32_e32 v2, v0
.LBB22_39:
	s_or_b32 exec_lo, exec_lo, s5
                                        ; implicit-def: $vgpr0_vgpr1
.LBB22_40:
	s_and_not1_saveexec_b32 s4, s4
	s_cbranch_execz .LBB22_42
; %bb.41:
	flat_load_i16 v0, v[0:1]
	s_waitcnt vmcnt(0) lgkmcnt(0)
	v_cvt_f32_i32_e32 v2, v0
.LBB22_42:
	s_or_b32 exec_lo, exec_lo, s4
                                        ; implicit-def: $vgpr0_vgpr1
                                        ; implicit-def: $vgpr3
.LBB22_43:
	s_and_not1_saveexec_b32 s3, s3
	s_cbranch_execz .LBB22_49
; %bb.44:
	s_mov_b32 s4, exec_lo
                                        ; implicit-def: $vgpr2
	v_cmpx_lt_i16_e32 0, v3
	s_xor_b32 s4, exec_lo, s4
	s_cbranch_execz .LBB22_46
; %bb.45:
	flat_load_i8 v0, v[0:1]
	s_waitcnt vmcnt(0) lgkmcnt(0)
	v_cvt_f32_i32_e32 v2, v0
                                        ; implicit-def: $vgpr0_vgpr1
.LBB22_46:
	s_and_not1_saveexec_b32 s4, s4
	s_cbranch_execz .LBB22_48
; %bb.47:
	flat_load_u8 v0, v[0:1]
	s_waitcnt vmcnt(0) lgkmcnt(0)
	v_cvt_f32_ubyte0_e32 v2, v0
.LBB22_48:
	s_or_b32 exec_lo, exec_lo, s4
.LBB22_49:
	s_delay_alu instid0(SALU_CYCLE_1)
	s_or_b32 exec_lo, exec_lo, s3
.LBB22_50:
	s_delay_alu instid0(SALU_CYCLE_1) | instskip(NEXT) | instid1(SALU_CYCLE_1)
	s_or_b32 exec_lo, exec_lo, s1
	s_or_b32 s2, s2, exec_lo
	s_or_b32 exec_lo, exec_lo, s0
                                        ; implicit-def: $vgpr0
	s_and_saveexec_b32 s1, s2
	s_cbranch_execz .LBB22_9
.LBB22_51:
	v_mov_b32_e32 v0, 0x7f800000
	s_mov_b32 s2, exec_lo
	s_waitcnt vmcnt(0) lgkmcnt(0)
	s_delay_alu instid0(VALU_DEP_2)
	v_cmpx_neq_f32_e32 0, v2
	s_cbranch_execz .LBB22_63
; %bb.52:
	v_mov_b32_e32 v0, 0x7fc00000
	s_mov_b32 s3, exec_lo
	v_cmpx_ngt_f32_e32 0, v2
	s_cbranch_execz .LBB22_62
; %bb.53:
                                        ; implicit-def: $vgpr0
	s_mov_b32 s0, exec_lo
	v_cmpx_ge_f32_e32 2.0, v2
	s_xor_b32 s4, exec_lo, s0
	s_cbranch_execz .LBB22_59
; %bb.54:
	s_mov_b32 s0, exec_lo
                                        ; implicit-def: $vgpr0
	v_cmpx_ge_f32_e32 0x41000000, v2
	s_xor_b32 s0, exec_lo, s0
	s_cbranch_execz .LBB22_56
; %bb.55:
	v_fma_f32 v0, v2, 0.5, -2.0
	v_cmp_ngt_f32_e32 vcc_lo, 0xc2ce8ed0, v2
	v_mul_f32_e32 v4, 0x3fb8aa3b, v2
	s_mov_b32 s5, 0xa2a2e5b9
	s_delay_alu instid0(VALU_DEP_1) | instskip(SKIP_2) | instid1(VALU_DEP_3)
	v_rndne_f32_e32 v5, v4
	v_fmaak_f32 v1, s5, v0, 0x24199b15
	v_fma_f32 v6, 0x3fb8aa3b, v2, -v4
	v_sub_f32_e32 v4, v4, v5
	s_delay_alu instid0(VALU_DEP_3) | instskip(NEXT) | instid1(VALU_DEP_3)
	v_fmaak_f32 v3, v0, v1, 0x22a2e5b9
	v_fmamk_f32 v6, v2, 0x32a5705f, v6
	v_cvt_i32_f32_e32 v5, v5
	s_delay_alu instid0(VALU_DEP_2) | instskip(NEXT) | instid1(VALU_DEP_1)
	v_dual_add_f32 v3, 0xa58c275c, v3 :: v_dual_add_f32 v4, v4, v6
	v_fma_f32 v1, v0, v3, -v1
	s_delay_alu instid0(VALU_DEP_2) | instskip(NEXT) | instid1(VALU_DEP_1)
	v_exp_f32_e32 v4, v4
	v_add_f32_e32 v1, 0x26f736c5, v1
	s_delay_alu instid0(VALU_DEP_1) | instskip(NEXT) | instid1(VALU_DEP_1)
	v_fma_f32 v3, v0, v1, -v3
	v_add_f32_e32 v3, 0xa8528116, v3
	s_delay_alu instid0(VALU_DEP_1) | instskip(NEXT) | instid1(VALU_DEP_1)
	v_fma_f32 v1, v0, v3, -v1
	;; [unrolled: 3-line block ×25, first 2 shown]
	v_add_f32_e32 v3, 0xbe9bff5e, v3
	s_delay_alu instid0(VALU_DEP_1) | instskip(SKIP_1) | instid1(VALU_DEP_1)
	v_fma_f32 v0, v0, v3, -v1
	v_ldexp_f32 v3, v4, v5
	v_dual_add_f32 v0, 0x3f2d4275, v0 :: v_dual_cndmask_b32 v3, 0, v3
	v_cmp_nlt_f32_e32 vcc_lo, 0x42b17218, v2
	s_delay_alu instid0(VALU_DEP_2) | instskip(NEXT) | instid1(VALU_DEP_1)
	v_dual_sub_f32 v0, v0, v1 :: v_dual_cndmask_b32 v1, 0x7f800000, v3
	v_mul_f32_e32 v0, 0.5, v0
	s_delay_alu instid0(VALU_DEP_1)
	v_mul_f32_e32 v0, v1, v0
.LBB22_56:
	s_and_not1_saveexec_b32 s5, s0
	s_cbranch_execz .LBB22_58
; %bb.57:
	v_div_scale_f32 v0, null, v2, v2, 0x42000000
	v_div_scale_f32 v4, vcc_lo, 0x42000000, v2, 0x42000000
	s_mov_b32 s0, 0xa3056dbb
	s_delay_alu instid0(VALU_DEP_2) | instskip(SKIP_2) | instid1(VALU_DEP_1)
	v_rcp_f32_e32 v1, v0
	s_waitcnt_depctr 0xfff
	v_fma_f32 v3, -v0, v1, 1.0
	v_fmac_f32_e32 v1, v3, v1
	s_delay_alu instid0(VALU_DEP_1) | instskip(NEXT) | instid1(VALU_DEP_1)
	v_mul_f32_e32 v3, v4, v1
	v_fma_f32 v5, -v0, v3, v4
	s_delay_alu instid0(VALU_DEP_1) | instskip(SKIP_1) | instid1(VALU_DEP_2)
	v_fmac_f32_e32 v3, v5, v1
	v_mul_f32_e32 v5, 0x3fb8aa3b, v2
	v_fma_f32 v0, -v0, v3, v4
	v_mul_f32_e32 v4, 0x4f800000, v2
	s_delay_alu instid0(VALU_DEP_3) | instskip(SKIP_1) | instid1(VALU_DEP_4)
	v_rndne_f32_e32 v6, v5
	v_fma_f32 v7, 0x3fb8aa3b, v2, -v5
	v_div_fmas_f32 v0, v0, v1, v3
	v_cmp_gt_f32_e32 vcc_lo, 0xf800000, v2
	s_delay_alu instid0(VALU_DEP_3) | instskip(NEXT) | instid1(VALU_DEP_3)
	v_fmamk_f32 v7, v2, 0x32a5705f, v7
	v_div_fixup_f32 v0, v0, v2, 0x42000000
	v_cndmask_b32_e32 v4, v2, v4, vcc_lo
	s_delay_alu instid0(VALU_DEP_2) | instskip(NEXT) | instid1(VALU_DEP_2)
	v_add_f32_e32 v0, -2.0, v0
	v_sqrt_f32_e32 v8, v4
	s_delay_alu instid0(VALU_DEP_1) | instskip(NEXT) | instid1(VALU_DEP_1)
	v_fmaak_f32 v1, s0, v0, 0xa2b236d3
	v_fmaak_f32 v3, v0, v1, 0x23056dbb
	s_waitcnt_depctr 0xfff
	v_add_nc_u32_e32 v9, 1, v8
	v_add_f32_e32 v3, 0x244df0c1, v3
	s_delay_alu instid0(VALU_DEP_2) | instskip(NEXT) | instid1(VALU_DEP_2)
	v_fma_f32 v11, -v9, v8, v4
	v_fma_f32 v1, v0, v3, -v1
	s_delay_alu instid0(VALU_DEP_1) | instskip(NEXT) | instid1(VALU_DEP_1)
	v_add_f32_e32 v1, 0x241f9ee8, v1
	v_fma_f32 v3, v0, v1, -v3
	s_delay_alu instid0(VALU_DEP_1) | instskip(NEXT) | instid1(VALU_DEP_1)
	v_add_f32_e32 v3, 0xa5a3005d, v3
	;; [unrolled: 3-line block ×21, first 2 shown]
	v_fma_f32 v0, v0, v1, -v3
	v_sub_f32_e32 v5, v5, v6
	v_cvt_i32_f32_e32 v6, v6
	s_delay_alu instid0(VALU_DEP_2) | instskip(NEXT) | instid1(VALU_DEP_1)
	v_dual_add_f32 v0, 0x3f4df315, v0 :: v_dual_add_f32 v5, v5, v7
	v_dual_sub_f32 v0, v0, v3 :: v_dual_add_nc_u32 v7, -1, v8
	s_delay_alu instid0(VALU_DEP_2) | instskip(NEXT) | instid1(VALU_DEP_1)
	v_exp_f32_e32 v5, v5
	v_fma_f32 v10, -v7, v8, v4
	s_delay_alu instid0(VALU_DEP_2) | instskip(NEXT) | instid1(VALU_DEP_2)
	v_mul_f32_e32 v0, 0.5, v0
	v_cmp_ge_f32_e64 s0, 0, v10
	s_waitcnt_depctr 0xfff
	v_ldexp_f32 v1, v5, v6
	v_cndmask_b32_e64 v7, v8, v7, s0
	v_cmp_lt_f32_e64 s0, 0, v11
	s_delay_alu instid0(VALU_DEP_1) | instskip(SKIP_1) | instid1(VALU_DEP_2)
	v_cndmask_b32_e64 v5, v7, v9, s0
	v_cmp_ngt_f32_e64 s0, 0xc2ce8ed0, v2
	v_mul_f32_e32 v6, 0x37800000, v5
	s_delay_alu instid0(VALU_DEP_2) | instskip(SKIP_1) | instid1(VALU_DEP_3)
	v_cndmask_b32_e64 v1, 0, v1, s0
	v_cmp_nlt_f32_e64 s0, 0x42b17218, v2
	v_cndmask_b32_e32 v3, v5, v6, vcc_lo
	v_cmp_class_f32_e64 vcc_lo, v4, 0x260
	s_delay_alu instid0(VALU_DEP_3) | instskip(NEXT) | instid1(VALU_DEP_3)
	v_cndmask_b32_e64 v1, 0x7f800000, v1, s0
	v_cndmask_b32_e32 v3, v3, v4, vcc_lo
	s_delay_alu instid0(VALU_DEP_2) | instskip(NEXT) | instid1(VALU_DEP_1)
	v_mul_f32_e32 v0, v1, v0
	v_div_scale_f32 v1, null, v3, v3, v0
	s_delay_alu instid0(VALU_DEP_1) | instskip(SKIP_2) | instid1(VALU_DEP_1)
	v_rcp_f32_e32 v4, v1
	s_waitcnt_depctr 0xfff
	v_fma_f32 v5, -v1, v4, 1.0
	v_fmac_f32_e32 v4, v5, v4
	v_div_scale_f32 v5, vcc_lo, v0, v3, v0
	s_delay_alu instid0(VALU_DEP_1) | instskip(NEXT) | instid1(VALU_DEP_1)
	v_mul_f32_e32 v6, v5, v4
	v_fma_f32 v7, -v1, v6, v5
	s_delay_alu instid0(VALU_DEP_1) | instskip(NEXT) | instid1(VALU_DEP_1)
	v_fmac_f32_e32 v6, v7, v4
	v_fma_f32 v1, -v1, v6, v5
	s_delay_alu instid0(VALU_DEP_1) | instskip(NEXT) | instid1(VALU_DEP_1)
	v_div_fmas_f32 v1, v1, v4, v6
	v_div_fixup_f32 v0, v1, v3, v0
.LBB22_58:
	s_or_b32 exec_lo, exec_lo, s5
	v_cvt_f64_f32_e32 v[3:4], v2
	s_mov_b32 s7, 0x3fe55555
	s_mov_b32 s6, 0x55555555
	;; [unrolled: 1-line block ×3, first 2 shown]
	v_mov_b32_e32 v7, 0
	s_mov_b32 s8, 0x6b47b09a
	s_mov_b32 s10, 0xbf559e2b
	;; [unrolled: 1-line block ×4, first 2 shown]
	s_delay_alu instid0(VALU_DEP_2) | instskip(NEXT) | instid1(VALU_DEP_1)
	v_mul_f64 v[3:4], v[3:4], 0.5
	v_frexp_mant_f64_e32 v[5:6], v[3:4]
	v_frexp_exp_i32_f64_e32 v1, v[3:4]
	s_delay_alu instid0(VALU_DEP_2) | instskip(SKIP_2) | instid1(VALU_DEP_3)
	v_cmp_gt_f64_e32 vcc_lo, s[6:7], v[5:6]
	s_mov_b32 s6, 0x55555780
	v_cndmask_b32_e64 v8, 0x3ff00000, 2.0, vcc_lo
	v_subrev_co_ci_u32_e32 v1, vcc_lo, 0, v1, vcc_lo
	v_cmp_eq_f64_e32 vcc_lo, 0x7ff00000, v[3:4]
	s_delay_alu instid0(VALU_DEP_3) | instskip(NEXT) | instid1(VALU_DEP_1)
	v_mul_f64 v[5:6], v[5:6], v[7:8]
	v_add_f64 v[7:8], v[5:6], 1.0
	v_add_f64 v[13:14], v[5:6], -1.0
	s_delay_alu instid0(VALU_DEP_2) | instskip(SKIP_1) | instid1(VALU_DEP_1)
	v_rcp_f64_e32 v[9:10], v[7:8]
	v_add_f64 v[15:16], v[7:8], -1.0
	v_add_f64 v[5:6], v[5:6], -v[15:16]
	s_waitcnt_depctr 0xfff
	v_fma_f64 v[11:12], -v[7:8], v[9:10], 1.0
	s_delay_alu instid0(VALU_DEP_1) | instskip(NEXT) | instid1(VALU_DEP_1)
	v_fma_f64 v[9:10], v[11:12], v[9:10], v[9:10]
	v_fma_f64 v[11:12], -v[7:8], v[9:10], 1.0
	s_delay_alu instid0(VALU_DEP_1) | instskip(NEXT) | instid1(VALU_DEP_1)
	v_fma_f64 v[9:10], v[11:12], v[9:10], v[9:10]
	v_mul_f64 v[11:12], v[13:14], v[9:10]
	s_delay_alu instid0(VALU_DEP_1) | instskip(NEXT) | instid1(VALU_DEP_1)
	v_mul_f64 v[17:18], v[7:8], v[11:12]
	v_fma_f64 v[7:8], v[11:12], v[7:8], -v[17:18]
	s_delay_alu instid0(VALU_DEP_1) | instskip(NEXT) | instid1(VALU_DEP_1)
	v_fma_f64 v[5:6], v[11:12], v[5:6], v[7:8]
	v_add_f64 v[7:8], v[17:18], v[5:6]
	s_delay_alu instid0(VALU_DEP_1) | instskip(SKIP_1) | instid1(VALU_DEP_2)
	v_add_f64 v[15:16], v[13:14], -v[7:8]
	v_add_f64 v[17:18], v[7:8], -v[17:18]
	;; [unrolled: 1-line block ×3, first 2 shown]
	s_delay_alu instid0(VALU_DEP_2) | instskip(NEXT) | instid1(VALU_DEP_2)
	v_add_f64 v[5:6], v[17:18], -v[5:6]
	v_add_f64 v[7:8], v[13:14], -v[7:8]
	s_delay_alu instid0(VALU_DEP_1) | instskip(NEXT) | instid1(VALU_DEP_1)
	v_add_f64 v[5:6], v[5:6], v[7:8]
	v_add_f64 v[5:6], v[15:16], v[5:6]
	s_delay_alu instid0(VALU_DEP_1) | instskip(NEXT) | instid1(VALU_DEP_1)
	v_mul_f64 v[5:6], v[9:10], v[5:6]
	v_add_f64 v[7:8], v[11:12], v[5:6]
	s_delay_alu instid0(VALU_DEP_1) | instskip(NEXT) | instid1(VALU_DEP_1)
	v_mul_f64 v[9:10], v[7:8], v[7:8]
	v_fma_f64 v[13:14], v[9:10], s[10:11], s[8:9]
	s_mov_b32 s8, 0xd7f4df2e
	s_mov_b32 s9, 0x3fc7474d
	v_mul_f64 v[15:16], v[7:8], v[9:10]
	s_delay_alu instid0(VALU_DEP_2)
	v_fma_f64 v[13:14], v[9:10], v[13:14], s[8:9]
	s_mov_b32 s8, 0x16291751
	s_mov_b32 s9, 0x3fcc71c0
	s_delay_alu instid0(VALU_DEP_1) | instid1(SALU_CYCLE_1)
	v_fma_f64 v[13:14], v[9:10], v[13:14], s[8:9]
	s_mov_b32 s8, 0x9b27acf1
	s_mov_b32 s9, 0x3fd24924
	s_delay_alu instid0(VALU_DEP_1) | instid1(SALU_CYCLE_1)
	;; [unrolled: 4-line block ×3, first 2 shown]
	v_fma_f64 v[13:14], v[9:10], v[13:14], s[8:9]
	s_delay_alu instid0(VALU_DEP_1) | instskip(SKIP_4) | instid1(VALU_DEP_3)
	v_fma_f64 v[9:10], v[9:10], v[13:14], s[6:7]
	v_ldexp_f64 v[13:14], v[7:8], 1
	v_add_f64 v[7:8], v[7:8], -v[11:12]
	s_mov_b32 s6, 0xfefa39ef
	s_mov_b32 s7, 0x3fe62e42
	v_mul_f64 v[9:10], v[15:16], v[9:10]
	v_cvt_f64_i32_e32 v[15:16], v1
	s_delay_alu instid0(VALU_DEP_3) | instskip(NEXT) | instid1(VALU_DEP_3)
	v_add_f64 v[5:6], v[5:6], -v[7:8]
	v_add_f64 v[11:12], v[13:14], v[9:10]
	s_delay_alu instid0(VALU_DEP_3) | instskip(NEXT) | instid1(VALU_DEP_3)
	v_mul_f64 v[17:18], v[15:16], s[6:7]
	v_ldexp_f64 v[5:6], v[5:6], 1
	s_delay_alu instid0(VALU_DEP_3) | instskip(NEXT) | instid1(VALU_DEP_3)
	v_add_f64 v[7:8], v[11:12], -v[13:14]
	v_fma_f64 v[13:14], v[15:16], s[6:7], -v[17:18]
	s_mov_b32 s6, 0x3b39803f
	s_mov_b32 s7, 0x3c7abc9e
	s_delay_alu instid0(VALU_DEP_2) | instskip(NEXT) | instid1(VALU_DEP_2)
	v_add_f64 v[7:8], v[9:10], -v[7:8]
	v_fma_f64 v[9:10], v[15:16], s[6:7], v[13:14]
	s_delay_alu instid0(VALU_DEP_2) | instskip(NEXT) | instid1(VALU_DEP_2)
	v_add_f64 v[5:6], v[5:6], v[7:8]
	v_add_f64 v[7:8], v[17:18], v[9:10]
	s_delay_alu instid0(VALU_DEP_2) | instskip(NEXT) | instid1(VALU_DEP_2)
	v_add_f64 v[13:14], v[11:12], v[5:6]
	v_add_f64 v[17:18], v[7:8], -v[17:18]
	s_delay_alu instid0(VALU_DEP_2) | instskip(SKIP_1) | instid1(VALU_DEP_3)
	v_add_f64 v[15:16], v[7:8], v[13:14]
	v_add_f64 v[11:12], v[13:14], -v[11:12]
	v_add_f64 v[9:10], v[9:10], -v[17:18]
	s_delay_alu instid0(VALU_DEP_3) | instskip(NEXT) | instid1(VALU_DEP_3)
	v_add_f64 v[19:20], v[15:16], -v[7:8]
	v_add_f64 v[5:6], v[5:6], -v[11:12]
	s_delay_alu instid0(VALU_DEP_2) | instskip(SKIP_1) | instid1(VALU_DEP_3)
	v_add_f64 v[21:22], v[15:16], -v[19:20]
	v_add_f64 v[11:12], v[13:14], -v[19:20]
	v_add_f64 v[13:14], v[9:10], v[5:6]
	s_delay_alu instid0(VALU_DEP_3) | instskip(NEXT) | instid1(VALU_DEP_1)
	v_add_f64 v[7:8], v[7:8], -v[21:22]
	v_add_f64 v[7:8], v[11:12], v[7:8]
	s_delay_alu instid0(VALU_DEP_3) | instskip(NEXT) | instid1(VALU_DEP_2)
	v_add_f64 v[11:12], v[13:14], -v[9:10]
	v_add_f64 v[7:8], v[13:14], v[7:8]
	s_delay_alu instid0(VALU_DEP_2) | instskip(SKIP_1) | instid1(VALU_DEP_3)
	v_add_f64 v[13:14], v[13:14], -v[11:12]
	v_add_f64 v[5:6], v[5:6], -v[11:12]
	v_add_f64 v[17:18], v[15:16], v[7:8]
	s_delay_alu instid0(VALU_DEP_3) | instskip(NEXT) | instid1(VALU_DEP_2)
	v_add_f64 v[9:10], v[9:10], -v[13:14]
	v_add_f64 v[11:12], v[17:18], -v[15:16]
	s_delay_alu instid0(VALU_DEP_2) | instskip(SKIP_1) | instid1(VALU_DEP_1)
	v_add_f64 v[5:6], v[5:6], v[9:10]
	v_fma_f32 v9, v2, v2, -2.0
	v_fmaak_f32 v10, s0, v9, 0x293fd856
	s_delay_alu instid0(VALU_DEP_1) | instskip(SKIP_1) | instid1(VALU_DEP_2)
	v_fmaak_f32 v1, v9, v10, 0xa51e770f
	v_add_f64 v[7:8], v[7:8], -v[11:12]
	v_add_f32_e32 v11, 0x2d3612e2, v1
	s_delay_alu instid0(VALU_DEP_2) | instskip(NEXT) | instid1(VALU_DEP_2)
	v_add_f64 v[1:2], v[5:6], v[7:8]
	v_fma_f32 v5, v9, v11, -v10
	s_delay_alu instid0(VALU_DEP_1) | instskip(NEXT) | instid1(VALU_DEP_1)
	v_add_f32_e32 v5, 0x3102e09b, v5
	v_fma_f32 v6, v9, v5, -v11
	s_delay_alu instid0(VALU_DEP_1) | instskip(NEXT) | instid1(VALU_DEP_1)
	v_add_f32_e32 v6, 0x348815e7, v6
	;; [unrolled: 3-line block ×3, first 2 shown]
	v_fma_f32 v6, v9, v5, -v6
	v_add_f64 v[1:2], v[17:18], v[1:2]
	s_delay_alu instid0(VALU_DEP_1) | instskip(NEXT) | instid1(VALU_DEP_1)
	v_dual_add_f32 v6, 0x3aa5c174, v6 :: v_dual_cndmask_b32 v7, v1, v3
	v_fma_f32 v5, v9, v6, -v5
	s_delay_alu instid0(VALU_DEP_1) | instskip(NEXT) | instid1(VALU_DEP_1)
	v_add_f32_e32 v5, 0x3d135fb3, v5
	v_fma_f32 v6, v9, v5, -v6
	s_delay_alu instid0(VALU_DEP_1) | instskip(NEXT) | instid1(VALU_DEP_1)
	v_add_f32_e32 v6, 0x3eb046c4, v6
	;; [unrolled: 3-line block ×3, first 2 shown]
	v_sub_f32_e32 v5, v6, v5
	v_cndmask_b32_e32 v6, v2, v4, vcc_lo
	v_cmp_neq_f64_e32 vcc_lo, 0, v[3:4]
	v_cvt_f64_f32_e32 v[3:4], v0
	s_delay_alu instid0(VALU_DEP_3) | instskip(NEXT) | instid1(VALU_DEP_1)
	v_dual_cndmask_b32 v6, 0xfff00000, v6 :: v_dual_mul_f32 v5, 0.5, v5
	v_cvt_f64_f32_e32 v[1:2], v5
	v_cndmask_b32_e32 v5, 0, v7, vcc_lo
	s_delay_alu instid0(VALU_DEP_1) | instskip(NEXT) | instid1(VALU_DEP_1)
	v_fma_f64 v[0:1], -v[5:6], v[3:4], v[1:2]
                                        ; implicit-def: $vgpr2
	v_cvt_f32_f64_e32 v0, v[0:1]
.LBB22_59:
	s_and_not1_saveexec_b32 s4, s4
	s_cbranch_execz .LBB22_61
; %bb.60:
	v_div_scale_f32 v0, null, v2, v2, 0x41000000
	v_div_scale_f32 v4, vcc_lo, 0x41000000, v2, 0x41000000
	s_mov_b32 s0, 0x22c38d2e
	s_delay_alu instid0(VALU_DEP_2) | instskip(SKIP_2) | instid1(VALU_DEP_1)
	v_rcp_f32_e32 v1, v0
	s_waitcnt_depctr 0xfff
	v_fma_f32 v3, -v0, v1, 1.0
	v_fmac_f32_e32 v1, v3, v1
	s_delay_alu instid0(VALU_DEP_1) | instskip(NEXT) | instid1(VALU_DEP_1)
	v_mul_f32_e32 v3, v4, v1
	v_fma_f32 v5, -v0, v3, v4
	s_delay_alu instid0(VALU_DEP_1) | instskip(SKIP_1) | instid1(VALU_DEP_2)
	v_fmac_f32_e32 v3, v5, v1
	v_mul_f32_e32 v5, 0xbfb8aa3b, v2
	v_fma_f32 v0, -v0, v3, v4
	v_mul_f32_e32 v4, 0x4f800000, v2
	s_delay_alu instid0(VALU_DEP_3) | instskip(SKIP_1) | instid1(VALU_DEP_4)
	v_rndne_f32_e32 v6, v5
	v_fma_f32 v7, 0xbfb8aa3b, v2, -v5
	v_div_fmas_f32 v0, v0, v1, v3
	v_cmp_gt_f32_e32 vcc_lo, 0xf800000, v2
	s_delay_alu instid0(VALU_DEP_3) | instskip(NEXT) | instid1(VALU_DEP_3)
	v_fmamk_f32 v7, v2, 0xb2a5705f, v7
	v_div_fixup_f32 v0, v0, v2, 0x41000000
	v_cndmask_b32_e32 v4, v2, v4, vcc_lo
	s_delay_alu instid0(VALU_DEP_2) | instskip(NEXT) | instid1(VALU_DEP_2)
	v_add_f32_e32 v0, -2.0, v0
	v_sqrt_f32_e32 v8, v4
	s_delay_alu instid0(VALU_DEP_1) | instskip(NEXT) | instid1(VALU_DEP_1)
	v_fmaak_f32 v1, s0, v0, 0xa397f665
	v_fmaak_f32 v3, v0, v1, 0xa2c38d2e
	s_waitcnt_depctr 0xfff
	v_add_nc_u32_e32 v9, 1, v8
	v_add_f32_e32 v3, 0x24704972, v3
	s_delay_alu instid0(VALU_DEP_2) | instskip(NEXT) | instid1(VALU_DEP_2)
	v_fma_f32 v11, -v9, v8, v4
	v_fma_f32 v1, v0, v3, -v1
	s_delay_alu instid0(VALU_DEP_1) | instskip(NEXT) | instid1(VALU_DEP_1)
	v_add_f32_e32 v1, 0xa5417ca4, v1
	v_fma_f32 v3, v0, v1, -v3
	s_delay_alu instid0(VALU_DEP_1) | instskip(NEXT) | instid1(VALU_DEP_1)
	v_add_f32_e32 v3, 0x261edfcb, v3
	;; [unrolled: 3-line block ×21, first 2 shown]
	v_fma_f32 v0, v0, v1, -v3
	v_sub_f32_e32 v5, v5, v6
	v_cvt_i32_f32_e32 v6, v6
	s_delay_alu instid0(VALU_DEP_2) | instskip(NEXT) | instid1(VALU_DEP_1)
	v_dual_add_f32 v0, 0x401c2ded, v0 :: v_dual_add_f32 v5, v5, v7
	v_dual_sub_f32 v0, v0, v3 :: v_dual_add_nc_u32 v7, -1, v8
	s_delay_alu instid0(VALU_DEP_2) | instskip(NEXT) | instid1(VALU_DEP_1)
	v_exp_f32_e32 v5, v5
	v_fma_f32 v10, -v7, v8, v4
	s_delay_alu instid0(VALU_DEP_2) | instskip(NEXT) | instid1(VALU_DEP_2)
	v_mul_f32_e32 v0, 0.5, v0
	v_cmp_ge_f32_e64 s0, 0, v10
	s_waitcnt_depctr 0xfff
	v_ldexp_f32 v1, v5, v6
	v_cndmask_b32_e64 v7, v8, v7, s0
	v_cmp_lt_f32_e64 s0, 0, v11
	s_delay_alu instid0(VALU_DEP_1) | instskip(SKIP_1) | instid1(VALU_DEP_2)
	v_cndmask_b32_e64 v5, v7, v9, s0
	v_cmp_nlt_f32_e64 s0, 0x42ce8ed0, v2
	v_mul_f32_e32 v6, 0x37800000, v5
	s_delay_alu instid0(VALU_DEP_2) | instskip(SKIP_1) | instid1(VALU_DEP_3)
	v_cndmask_b32_e64 v1, 0, v1, s0
	v_cmp_ngt_f32_e64 s0, 0xc2b17218, v2
	v_cndmask_b32_e32 v2, v5, v6, vcc_lo
	v_cmp_class_f32_e64 vcc_lo, v4, 0x260
	s_delay_alu instid0(VALU_DEP_3) | instskip(NEXT) | instid1(VALU_DEP_3)
	v_cndmask_b32_e64 v1, 0x7f800000, v1, s0
	v_cndmask_b32_e32 v2, v2, v4, vcc_lo
	s_delay_alu instid0(VALU_DEP_2) | instskip(NEXT) | instid1(VALU_DEP_1)
	v_mul_f32_e32 v0, v1, v0
	v_div_scale_f32 v1, null, v2, v2, v0
	s_delay_alu instid0(VALU_DEP_1) | instskip(SKIP_2) | instid1(VALU_DEP_1)
	v_rcp_f32_e32 v3, v1
	s_waitcnt_depctr 0xfff
	v_fma_f32 v4, -v1, v3, 1.0
	v_fmac_f32_e32 v3, v4, v3
	v_div_scale_f32 v4, vcc_lo, v0, v2, v0
	s_delay_alu instid0(VALU_DEP_1) | instskip(NEXT) | instid1(VALU_DEP_1)
	v_mul_f32_e32 v5, v4, v3
	v_fma_f32 v6, -v1, v5, v4
	s_delay_alu instid0(VALU_DEP_1) | instskip(NEXT) | instid1(VALU_DEP_1)
	v_fmac_f32_e32 v5, v6, v3
	v_fma_f32 v1, -v1, v5, v4
	s_delay_alu instid0(VALU_DEP_1) | instskip(NEXT) | instid1(VALU_DEP_1)
	v_div_fmas_f32 v1, v1, v3, v5
	v_div_fixup_f32 v0, v1, v2, v0
.LBB22_61:
	s_or_b32 exec_lo, exec_lo, s4
.LBB22_62:
	s_delay_alu instid0(SALU_CYCLE_1)
	s_or_b32 exec_lo, exec_lo, s3
.LBB22_63:
	s_delay_alu instid0(SALU_CYCLE_1) | instskip(NEXT) | instid1(SALU_CYCLE_1)
	s_or_b32 exec_lo, exec_lo, s2
	s_or_b32 exec_lo, exec_lo, s1
	s_setpc_b64 s[30:31]
.LBB22_64:
	s_mov_b32 s5, 0
	s_mov_b32 s2, exec_lo
                                        ; implicit-def: $vgpr2
	v_cmpx_lt_i16_e32 28, v3
	s_xor_b32 s2, exec_lo, s2
	s_cbranch_execz .LBB22_80
; %bb.65:
	s_mov_b32 s6, 0
	s_mov_b32 s7, 0
	s_mov_b32 s4, exec_lo
                                        ; implicit-def: $vgpr2
	v_cmpx_lt_i16_e32 43, v3
	s_xor_b32 s4, exec_lo, s4
	s_cbranch_execz .LBB22_75
; %bb.66:
	s_mov_b32 s7, exec_lo
                                        ; implicit-def: $vgpr2
	v_cmpx_lt_i16_e32 45, v3
	s_xor_b32 s7, exec_lo, s7
	s_cbranch_execz .LBB22_70
; %bb.67:
	s_mov_b32 s8, -1
	s_mov_b32 s6, exec_lo
                                        ; implicit-def: $vgpr2
	v_cmpx_eq_u16_e32 46, v3
	s_cbranch_execz .LBB22_69
; %bb.68:
	flat_load_b32 v2, v[0:1]
	s_mov_b32 s5, exec_lo
	s_xor_b32 s8, exec_lo, -1
	s_waitcnt vmcnt(0) lgkmcnt(0)
	v_lshlrev_b32_e32 v2, 16, v2
.LBB22_69:
	s_or_b32 exec_lo, exec_lo, s6
	s_delay_alu instid0(SALU_CYCLE_1)
	s_and_b32 s6, s5, exec_lo
	s_and_b32 s5, s8, exec_lo
                                        ; implicit-def: $vgpr3
.LBB22_70:
	s_and_not1_saveexec_b32 s7, s7
	s_cbranch_execz .LBB22_74
; %bb.71:
	s_mov_b32 s8, -1
	s_mov_b32 s10, s6
	s_mov_b32 s9, exec_lo
                                        ; implicit-def: $vgpr2
	v_cmpx_eq_u16_e32 44, v3
	s_cbranch_execz .LBB22_73
; %bb.72:
	flat_load_u8 v2, v[0:1]
	s_or_b32 s10, s6, exec_lo
	s_xor_b32 s8, exec_lo, -1
	s_waitcnt vmcnt(0) lgkmcnt(0)
	v_lshlrev_b32_e32 v3, 23, v2
	v_cmp_ne_u32_e32 vcc_lo, 0xff, v2
	s_delay_alu instid0(VALU_DEP_2) | instskip(SKIP_1) | instid1(VALU_DEP_2)
	v_cndmask_b32_e32 v3, 0x7f800001, v3, vcc_lo
	v_cmp_ne_u32_e32 vcc_lo, 0, v2
	v_cndmask_b32_e32 v2, 0x400000, v3, vcc_lo
.LBB22_73:
	s_or_b32 exec_lo, exec_lo, s9
	s_delay_alu instid0(SALU_CYCLE_1)
	s_and_not1_b32 s6, s6, exec_lo
	s_and_b32 s9, s10, exec_lo
	s_and_not1_b32 s5, s5, exec_lo
	s_and_b32 s8, s8, exec_lo
	s_or_b32 s6, s6, s9
	s_or_b32 s5, s5, s8
.LBB22_74:
	s_or_b32 exec_lo, exec_lo, s7
	s_delay_alu instid0(SALU_CYCLE_1)
	s_and_b32 s7, s6, exec_lo
	s_and_b32 s6, s5, exec_lo
                                        ; implicit-def: $vgpr3
.LBB22_75:
	s_and_not1_saveexec_b32 s4, s4
	s_cbranch_execz .LBB22_79
; %bb.76:
	s_mov_b32 s5, -1
	s_mov_b32 s9, s7
	s_mov_b32 s8, exec_lo
                                        ; implicit-def: $vgpr2
	v_cmpx_eq_u16_e32 29, v3
	s_cbranch_execz .LBB22_78
; %bb.77:
	flat_load_b64 v[2:3], v[0:1]
	s_or_b32 s9, s7, exec_lo
	s_xor_b32 s5, exec_lo, -1
	s_waitcnt vmcnt(0) lgkmcnt(0)
	v_clz_i32_u32_e32 v4, v3
	s_delay_alu instid0(VALU_DEP_1) | instskip(NEXT) | instid1(VALU_DEP_1)
	v_min_u32_e32 v4, 32, v4
	v_lshlrev_b64 v[2:3], v4, v[2:3]
	s_delay_alu instid0(VALU_DEP_1) | instskip(NEXT) | instid1(VALU_DEP_1)
	v_min_u32_e32 v2, 1, v2
	v_or_b32_e32 v2, v3, v2
	v_sub_nc_u32_e32 v3, 32, v4
	s_delay_alu instid0(VALU_DEP_2) | instskip(NEXT) | instid1(VALU_DEP_1)
	v_cvt_f32_u32_e32 v2, v2
	v_ldexp_f32 v2, v2, v3
.LBB22_78:
	s_or_b32 exec_lo, exec_lo, s8
	s_delay_alu instid0(SALU_CYCLE_1)
	s_and_not1_b32 s7, s7, exec_lo
	s_and_b32 s8, s9, exec_lo
	s_and_not1_b32 s6, s6, exec_lo
	s_and_b32 s5, s5, exec_lo
	s_or_b32 s7, s7, s8
	s_or_b32 s6, s6, s5
.LBB22_79:
	s_or_b32 exec_lo, exec_lo, s4
	s_delay_alu instid0(SALU_CYCLE_1)
	s_and_b32 s5, s7, exec_lo
	s_and_b32 s4, s6, exec_lo
                                        ; implicit-def: $vgpr3
.LBB22_80:
	s_and_not1_saveexec_b32 s2, s2
	s_cbranch_execz .LBB22_94
; %bb.81:
	s_mov_b32 s6, exec_lo
                                        ; implicit-def: $vgpr2
	v_cmpx_lt_i16_e32 26, v3
	s_xor_b32 s6, exec_lo, s6
	s_cbranch_execz .LBB22_87
; %bb.82:
	s_mov_b32 s7, exec_lo
                                        ; implicit-def: $vgpr2
	v_cmpx_lt_i16_e32 27, v3
	s_xor_b32 s7, exec_lo, s7
	s_cbranch_execz .LBB22_84
; %bb.83:
	flat_load_b32 v2, v[0:1]
	s_waitcnt vmcnt(0) lgkmcnt(0)
	v_cvt_f32_u32_e32 v2, v2
.LBB22_84:
	s_and_not1_saveexec_b32 s7, s7
	s_cbranch_execz .LBB22_86
; %bb.85:
	flat_load_u16 v2, v[0:1]
	s_waitcnt vmcnt(0) lgkmcnt(0)
	v_cvt_f32_u32_e32 v2, v2
.LBB22_86:
	s_or_b32 exec_lo, exec_lo, s7
.LBB22_87:
	s_and_not1_saveexec_b32 s6, s6
	s_cbranch_execz .LBB22_93
; %bb.88:
	flat_load_u8 v3, v[0:1]
	s_mov_b32 s7, 0
	s_mov_b32 s9, exec_lo
                                        ; implicit-def: $sgpr8
	s_waitcnt vmcnt(0) lgkmcnt(0)
	v_cmpx_lt_i16_e32 0x7f, v3
	s_xor_b32 s9, exec_lo, s9
	s_cbranch_execnz .LBB22_120
; %bb.89:
	s_or_saveexec_b32 s9, s9
	v_mov_b32_e32 v2, s8
	s_xor_b32 exec_lo, exec_lo, s9
	s_cbranch_execnz .LBB22_123
.LBB22_90:
	s_or_b32 exec_lo, exec_lo, s9
	s_and_saveexec_b32 s8, s7
	s_cbranch_execz .LBB22_92
.LBB22_91:
	v_and_b32_e32 v2, 0xffff, v3
	s_delay_alu instid0(VALU_DEP_1) | instskip(NEXT) | instid1(VALU_DEP_1)
	v_and_b32_e32 v4, 7, v2
	v_clz_i32_u32_e32 v5, v4
	s_delay_alu instid0(VALU_DEP_1) | instskip(NEXT) | instid1(VALU_DEP_1)
	v_min_u32_e32 v5, 32, v5
	v_subrev_nc_u32_e32 v6, 28, v5
	v_sub_nc_u32_e32 v5, 29, v5
	s_delay_alu instid0(VALU_DEP_2) | instskip(SKIP_1) | instid1(VALU_DEP_2)
	v_lshlrev_b32_e32 v6, v6, v2
	v_bfe_u32 v2, v2, 3, 4
	v_and_b32_e32 v6, 7, v6
	s_delay_alu instid0(VALU_DEP_2) | instskip(SKIP_1) | instid1(VALU_DEP_1)
	v_cmp_eq_u32_e32 vcc_lo, 0, v2
	v_dual_cndmask_b32 v2, v2, v5 :: v_dual_lshlrev_b32 v3, 24, v3
	v_dual_cndmask_b32 v4, v4, v6 :: v_dual_and_b32 v3, 0x80000000, v3
	s_delay_alu instid0(VALU_DEP_2) | instskip(NEXT) | instid1(VALU_DEP_2)
	v_lshl_add_u32 v2, v2, 23, 0x3b800000
	v_lshlrev_b32_e32 v4, 20, v4
	s_delay_alu instid0(VALU_DEP_1)
	v_or3_b32 v2, v3, v2, v4
.LBB22_92:
	s_or_b32 exec_lo, exec_lo, s8
.LBB22_93:
	s_delay_alu instid0(SALU_CYCLE_1) | instskip(NEXT) | instid1(SALU_CYCLE_1)
	s_or_b32 exec_lo, exec_lo, s6
	s_or_b32 s5, s5, exec_lo
.LBB22_94:
	s_or_b32 exec_lo, exec_lo, s2
	s_delay_alu instid0(SALU_CYCLE_1)
	s_and_b32 s2, s5, exec_lo
	s_and_b32 s4, s4, exec_lo
                                        ; implicit-def: $vgpr3
	s_and_not1_saveexec_b32 s3, s3
	s_cbranch_execz .LBB22_3
.LBB22_95:
	s_mov_b32 s5, s2
	s_mov_b32 s1, exec_lo
                                        ; implicit-def: $vgpr2
	v_cmpx_lt_i16_e32 22, v3
	s_xor_b32 s1, exec_lo, s1
	s_cbranch_execz .LBB22_109
; %bb.96:
	s_mov_b32 s5, exec_lo
                                        ; implicit-def: $vgpr2
	v_cmpx_lt_i16_e32 23, v3
	s_xor_b32 s5, exec_lo, s5
	s_cbranch_execz .LBB22_106
; %bb.97:
	;; [unrolled: 6-line block ×3, first 2 shown]
	flat_load_u8 v3, v[0:1]
	s_mov_b32 s7, 0
	s_mov_b32 s9, exec_lo
                                        ; implicit-def: $sgpr8
	s_waitcnt vmcnt(0) lgkmcnt(0)
	v_cmpx_lt_i16_e32 0x7f, v3
	s_xor_b32 s9, exec_lo, s9
	s_cbranch_execnz .LBB22_124
; %bb.99:
	s_or_saveexec_b32 s9, s9
	v_mov_b32_e32 v2, s8
	s_xor_b32 exec_lo, exec_lo, s9
	s_cbranch_execnz .LBB22_127
.LBB22_100:
	s_or_b32 exec_lo, exec_lo, s9
	s_and_saveexec_b32 s8, s7
	s_cbranch_execz .LBB22_102
.LBB22_101:
	v_and_b32_e32 v2, 0xffff, v3
	s_delay_alu instid0(VALU_DEP_1) | instskip(NEXT) | instid1(VALU_DEP_1)
	v_and_b32_e32 v4, 3, v2
	v_clz_i32_u32_e32 v5, v4
	s_delay_alu instid0(VALU_DEP_1) | instskip(NEXT) | instid1(VALU_DEP_1)
	v_min_u32_e32 v5, 32, v5
	v_subrev_nc_u32_e32 v6, 29, v5
	v_sub_nc_u32_e32 v5, 30, v5
	s_delay_alu instid0(VALU_DEP_2) | instskip(SKIP_1) | instid1(VALU_DEP_2)
	v_lshlrev_b32_e32 v6, v6, v2
	v_bfe_u32 v2, v2, 2, 5
	v_and_b32_e32 v6, 3, v6
	s_delay_alu instid0(VALU_DEP_2) | instskip(SKIP_1) | instid1(VALU_DEP_1)
	v_cmp_eq_u32_e32 vcc_lo, 0, v2
	v_dual_cndmask_b32 v2, v2, v5 :: v_dual_lshlrev_b32 v3, 24, v3
	v_dual_cndmask_b32 v4, v4, v6 :: v_dual_and_b32 v3, 0x80000000, v3
	s_delay_alu instid0(VALU_DEP_2) | instskip(NEXT) | instid1(VALU_DEP_2)
	v_lshl_add_u32 v2, v2, 23, 0x37800000
	v_lshlrev_b32_e32 v4, 21, v4
	s_delay_alu instid0(VALU_DEP_1)
	v_or3_b32 v2, v3, v2, v4
.LBB22_102:
	s_or_b32 exec_lo, exec_lo, s8
.LBB22_103:
	s_and_not1_saveexec_b32 s6, s6
	s_cbranch_execz .LBB22_105
; %bb.104:
	flat_load_u8 v2, v[0:1]
	s_waitcnt vmcnt(0) lgkmcnt(0)
	v_lshlrev_b32_e32 v2, 24, v2
	s_delay_alu instid0(VALU_DEP_1) | instskip(NEXT) | instid1(VALU_DEP_1)
	v_and_b32_e32 v3, 0x7f000000, v2
	v_clz_i32_u32_e32 v4, v3
	v_add_nc_u32_e32 v6, 0x1000000, v3
	v_cmp_ne_u32_e32 vcc_lo, 0, v3
	s_delay_alu instid0(VALU_DEP_3) | instskip(NEXT) | instid1(VALU_DEP_1)
	v_min_u32_e32 v4, 32, v4
	v_sub_nc_u32_e64 v4, v4, 4 clamp
	s_delay_alu instid0(VALU_DEP_1) | instskip(SKIP_1) | instid1(VALU_DEP_2)
	v_lshlrev_b32_e32 v5, v4, v3
	v_lshlrev_b32_e32 v4, 23, v4
	v_lshrrev_b32_e32 v5, 4, v5
	s_delay_alu instid0(VALU_DEP_1) | instskip(SKIP_1) | instid1(VALU_DEP_2)
	v_sub_nc_u32_e32 v4, v5, v4
	v_ashrrev_i32_e32 v5, 8, v6
	v_add_nc_u32_e32 v4, 0x3c000000, v4
	s_delay_alu instid0(VALU_DEP_1) | instskip(NEXT) | instid1(VALU_DEP_1)
	v_and_or_b32 v4, 0x7f800000, v5, v4
	v_cndmask_b32_e32 v3, 0, v4, vcc_lo
	s_delay_alu instid0(VALU_DEP_1)
	v_and_or_b32 v2, 0x80000000, v2, v3
.LBB22_105:
	s_or_b32 exec_lo, exec_lo, s6
.LBB22_106:
	s_and_not1_saveexec_b32 s5, s5
	s_cbranch_execz .LBB22_108
; %bb.107:
	flat_load_u8 v2, v[0:1]
	s_waitcnt vmcnt(0) lgkmcnt(0)
	v_lshlrev_b32_e32 v3, 25, v2
	v_lshlrev_b16 v2, 8, v2
	s_delay_alu instid0(VALU_DEP_2) | instskip(NEXT) | instid1(VALU_DEP_2)
	v_lshrrev_b32_e32 v4, 4, v3
	v_and_or_b32 v5, 0x7f00, v2, 0.5
	v_bfe_i32 v2, v2, 0, 16
	s_delay_alu instid0(VALU_DEP_3) | instskip(NEXT) | instid1(VALU_DEP_1)
	v_or_b32_e32 v4, 0x70000000, v4
	v_dual_add_f32 v5, -0.5, v5 :: v_dual_mul_f32 v4, 0x7800000, v4
	v_cmp_gt_u32_e32 vcc_lo, 0x8000000, v3
	s_delay_alu instid0(VALU_DEP_2) | instskip(NEXT) | instid1(VALU_DEP_1)
	v_cndmask_b32_e32 v3, v4, v5, vcc_lo
	v_and_or_b32 v2, 0x80000000, v2, v3
.LBB22_108:
	s_or_b32 exec_lo, exec_lo, s5
	s_delay_alu instid0(SALU_CYCLE_1)
	s_or_b32 s5, s2, exec_lo
                                        ; implicit-def: $vgpr3
.LBB22_109:
	s_or_saveexec_b32 s1, s1
	s_mov_b32 s6, 0
	s_mov_b32 s7, s4
	s_xor_b32 exec_lo, exec_lo, s1
	s_cbranch_execz .LBB22_117
; %bb.110:
	s_mov_b32 s6, s4
	s_mov_b32 s7, s5
	s_mov_b32 s8, exec_lo
                                        ; implicit-def: $vgpr2
	v_cmpx_lt_i16_e32 14, v3
	s_xor_b32 s8, exec_lo, s8
	s_cbranch_execz .LBB22_114
; %bb.111:
	s_mov_b32 s6, -1
	s_mov_b32 s7, s5
	s_mov_b32 s9, exec_lo
                                        ; implicit-def: $vgpr2
	v_cmpx_eq_u16_e32 15, v3
	s_cbranch_execz .LBB22_113
; %bb.112:
	flat_load_u16 v2, v[0:1]
	s_or_b32 s7, s5, exec_lo
	s_xor_b32 s6, exec_lo, -1
	s_waitcnt vmcnt(0) lgkmcnt(0)
	v_lshlrev_b32_e32 v2, 16, v2
.LBB22_113:
	s_or_b32 exec_lo, exec_lo, s9
	s_delay_alu instid0(SALU_CYCLE_1)
	s_and_not1_b32 s9, s5, exec_lo
	s_and_b32 s7, s7, exec_lo
	s_and_not1_b32 s10, s4, exec_lo
	s_and_b32 s6, s6, exec_lo
	s_or_b32 s7, s9, s7
	s_or_b32 s6, s10, s6
                                        ; implicit-def: $vgpr3
.LBB22_114:
	s_or_saveexec_b32 s8, s8
	s_mov_b32 s9, 0
	s_xor_b32 exec_lo, exec_lo, s8
; %bb.115:
	v_cmp_ne_u16_e32 vcc_lo, 11, v3
	s_and_not1_b32 s6, s6, exec_lo
	s_mov_b32 s9, exec_lo
                                        ; implicit-def: $vgpr2
	s_and_b32 s10, vcc_lo, exec_lo
	s_delay_alu instid0(SALU_CYCLE_1)
	s_or_b32 s6, s6, s10
; %bb.116:
	s_or_b32 exec_lo, exec_lo, s8
	s_delay_alu instid0(SALU_CYCLE_1)
	s_and_not1_b32 s5, s5, exec_lo
	s_and_b32 s7, s7, exec_lo
	s_and_b32 s8, s6, exec_lo
	s_or_b32 s5, s5, s7
	s_and_not1_b32 s7, s4, exec_lo
	s_and_b32 s6, s9, exec_lo
	s_or_b32 s7, s7, s8
.LBB22_117:
	s_or_b32 exec_lo, exec_lo, s1
	s_delay_alu instid0(SALU_CYCLE_1)
	s_and_not1_b32 s1, s2, exec_lo
	s_and_b32 s2, s5, exec_lo
	s_and_not1_b32 s4, s4, exec_lo
	s_and_b32 s5, s7, exec_lo
	s_or_b32 s2, s1, s2
	s_and_b32 s1, s6, exec_lo
	s_or_b32 s4, s4, s5
	s_or_b32 exec_lo, exec_lo, s3
	s_and_saveexec_b32 s3, s4
	s_cbranch_execz .LBB22_4
.LBB22_118:
	s_cbranch_execnz .LBB22_128
; %bb.119:
	; divergent unreachable
	s_and_not1_b32 s1, s1, exec_lo
                                        ; implicit-def: $vgpr2
	s_or_b32 exec_lo, exec_lo, s3
	s_and_saveexec_b32 s3, s1
	s_delay_alu instid0(SALU_CYCLE_1)
	s_xor_b32 s1, exec_lo, s3
	s_cbranch_execnz .LBB22_5
	s_branch .LBB22_6
.LBB22_120:
	s_mov_b32 s7, -1
	s_mov_b32 s10, exec_lo
                                        ; implicit-def: $sgpr8
	v_cmpx_eq_u16_e32 0x80, v3
; %bb.121:
	s_mov_b32 s8, 0x7f800001
	s_xor_b32 s7, exec_lo, -1
; %bb.122:
	s_or_b32 exec_lo, exec_lo, s10
	s_delay_alu instid0(SALU_CYCLE_1)
	s_and_b32 s7, s7, exec_lo
	s_or_saveexec_b32 s9, s9
	v_mov_b32_e32 v2, s8
	s_xor_b32 exec_lo, exec_lo, s9
	s_cbranch_execz .LBB22_90
.LBB22_123:
	v_cmp_ne_u16_e32 vcc_lo, 0, v3
	v_mov_b32_e32 v2, 0
	s_and_not1_b32 s7, s7, exec_lo
	s_and_b32 s8, vcc_lo, exec_lo
	s_delay_alu instid0(SALU_CYCLE_1)
	s_or_b32 s7, s7, s8
	s_or_b32 exec_lo, exec_lo, s9
	s_and_saveexec_b32 s8, s7
	s_cbranch_execnz .LBB22_91
	s_branch .LBB22_92
.LBB22_124:
	s_mov_b32 s7, -1
	s_mov_b32 s10, exec_lo
                                        ; implicit-def: $sgpr8
	v_cmpx_eq_u16_e32 0x80, v3
; %bb.125:
	s_mov_b32 s8, 0x7f800001
	s_xor_b32 s7, exec_lo, -1
; %bb.126:
	s_or_b32 exec_lo, exec_lo, s10
	s_delay_alu instid0(SALU_CYCLE_1)
	s_and_b32 s7, s7, exec_lo
	s_or_saveexec_b32 s9, s9
	v_mov_b32_e32 v2, s8
	s_xor_b32 exec_lo, exec_lo, s9
	s_cbranch_execz .LBB22_100
.LBB22_127:
	v_cmp_ne_u16_e32 vcc_lo, 0, v3
	v_mov_b32_e32 v2, 0
	s_and_not1_b32 s7, s7, exec_lo
	s_and_b32 s8, vcc_lo, exec_lo
	s_delay_alu instid0(SALU_CYCLE_1)
	s_or_b32 s7, s7, s8
	s_or_b32 exec_lo, exec_lo, s9
	s_and_saveexec_b32 s8, s7
	s_cbranch_execnz .LBB22_101
	s_branch .LBB22_102
.LBB22_128:
	s_trap 2
	s_sendmsg_rtn_b32 s0, sendmsg(MSG_RTN_GET_DOORBELL)
	s_mov_b32 ttmp2, m0
	s_waitcnt lgkmcnt(0)
	s_and_b32 s0, s0, 0x3ff
	s_delay_alu instid0(SALU_CYCLE_1) | instskip(NEXT) | instid1(SALU_CYCLE_1)
	s_bitset1_b32 s0, 10
	s_mov_b32 m0, s0
	s_sendmsg sendmsg(MSG_INTERRUPT)
	s_mov_b32 m0, ttmp2
.LBB22_129:                             ; =>This Inner Loop Header: Depth=1
	s_sethalt 5
	s_branch .LBB22_129
.Lfunc_end22:
	.size	_ZN2at6native6invokeIZZZNS0_12_GLOBAL__N_130modified_bessel_k0_kernel_cudaERNS_18TensorIteratorBaseEENKUlvE_clEvENKUlvE0_clEvEUlfE_j15function_traitsIS7_EEENT1_11result_typeERKT_PrKPcPKT0_PKN3c1010ScalarTypeEi, .Lfunc_end22-_ZN2at6native6invokeIZZZNS0_12_GLOBAL__N_130modified_bessel_k0_kernel_cudaERNS_18TensorIteratorBaseEENKUlvE_clEvENKUlvE0_clEvEUlfE_j15function_traitsIS7_EEENT1_11result_typeERKT_PrKPcPKT0_PKN3c1010ScalarTypeEi
                                        ; -- End function
	.section	.AMDGPU.csdata,"",@progbits
; Function info:
; codeLenInByte = 6292
; NumSgprs: 34
; NumVgprs: 23
; ScratchSize: 0
; MemoryBound: 1
	.section	.text._ZN2at6native32elementwise_kernel_manual_unrollILi128ELi4EZNS0_15gpu_kernel_implIZZZNS0_12_GLOBAL__N_130modified_bessel_k0_kernel_cudaERNS_18TensorIteratorBaseEENKUlvE_clEvENKUlvE0_clEvEUlfE_EEvS5_RKT_EUlibE0_EEviT1_,"axG",@progbits,_ZN2at6native32elementwise_kernel_manual_unrollILi128ELi4EZNS0_15gpu_kernel_implIZZZNS0_12_GLOBAL__N_130modified_bessel_k0_kernel_cudaERNS_18TensorIteratorBaseEENKUlvE_clEvENKUlvE0_clEvEUlfE_EEvS5_RKT_EUlibE0_EEviT1_,comdat
	.globl	_ZN2at6native32elementwise_kernel_manual_unrollILi128ELi4EZNS0_15gpu_kernel_implIZZZNS0_12_GLOBAL__N_130modified_bessel_k0_kernel_cudaERNS_18TensorIteratorBaseEENKUlvE_clEvENKUlvE0_clEvEUlfE_EEvS5_RKT_EUlibE0_EEviT1_ ; -- Begin function _ZN2at6native32elementwise_kernel_manual_unrollILi128ELi4EZNS0_15gpu_kernel_implIZZZNS0_12_GLOBAL__N_130modified_bessel_k0_kernel_cudaERNS_18TensorIteratorBaseEENKUlvE_clEvENKUlvE0_clEvEUlfE_EEvS5_RKT_EUlibE0_EEviT1_
	.p2align	8
	.type	_ZN2at6native32elementwise_kernel_manual_unrollILi128ELi4EZNS0_15gpu_kernel_implIZZZNS0_12_GLOBAL__N_130modified_bessel_k0_kernel_cudaERNS_18TensorIteratorBaseEENKUlvE_clEvENKUlvE0_clEvEUlfE_EEvS5_RKT_EUlibE0_EEviT1_,@function
_ZN2at6native32elementwise_kernel_manual_unrollILi128ELi4EZNS0_15gpu_kernel_implIZZZNS0_12_GLOBAL__N_130modified_bessel_k0_kernel_cudaERNS_18TensorIteratorBaseEENKUlvE_clEvENKUlvE0_clEvEUlfE_EEvS5_RKT_EUlibE0_EEviT1_: ; @_ZN2at6native32elementwise_kernel_manual_unrollILi128ELi4EZNS0_15gpu_kernel_implIZZZNS0_12_GLOBAL__N_130modified_bessel_k0_kernel_cudaERNS_18TensorIteratorBaseEENKUlvE_clEvENKUlvE0_clEvEUlfE_EEvS5_RKT_EUlibE0_EEviT1_
; %bb.0:
	s_clause 0x1
	s_load_b32 s33, s[0:1], 0x8
	s_load_b32 s41, s[0:1], 0x0
	v_lshl_or_b32 v25, s15, 9, v0
	s_mov_b64 s[12:13], s[0:1]
	s_mov_b32 s0, -1
	s_or_b32 s14, s12, 8
	s_mov_b32 s37, 0
	v_or_b32_e32 v1, 0x180, v25
	s_mov_b32 s15, s13
	s_mov_b32 s16, 0
	;; [unrolled: 1-line block ×3, first 2 shown]
	s_mov_b32 s1, exec_lo
	s_waitcnt lgkmcnt(0)
	s_add_i32 s36, s33, -1
	s_delay_alu instid0(SALU_CYCLE_1)
	s_cmp_gt_u32 s36, 1
	s_cselect_b32 s38, -1, 0
	v_cmpx_le_i32_e64 s41, v1
	s_xor_b32 s39, exec_lo, s1
	s_cbranch_execz .LBB23_183
; %bb.1:
	v_mov_b32_e32 v0, 0
	s_clause 0x3
	s_load_b128 s[24:27], s[14:15], 0x4
	s_load_b64 s[28:29], s[14:15], 0x14
	s_load_b128 s[20:23], s[14:15], 0xc4
	s_load_b128 s[16:19], s[14:15], 0x148
	s_cmp_lg_u32 s33, 0
	s_mov_b32 s46, 0
	s_cselect_b32 s43, -1, 0
	global_load_u16 v26, v0, s[14:15] offset:345
	s_add_u32 s34, s14, 0xc4
	s_addc_u32 s35, s15, 0
	s_min_u32 s42, s36, 15
	s_cmp_gt_u32 s33, 1
	s_mov_b32 s44, 0
	s_cselect_b32 s40, -1, 0
	s_mov_b32 s45, exec_lo
	s_waitcnt vmcnt(0)
	v_lshrrev_b16 v23, 8, v26
	v_cmpx_gt_i32_e64 s41, v25
	s_cbranch_execz .LBB23_134
; %bb.2:
	s_and_not1_b32 vcc_lo, exec_lo, s38
	s_cbranch_vccnz .LBB23_7
; %bb.3:
	v_mov_b32_e32 v24, 0
	v_mov_b32_e32 v2, 0
	s_and_not1_b32 vcc_lo, exec_lo, s43
	s_mov_b32 s4, 0
	s_cbranch_vccnz .LBB23_12
; %bb.4:
	v_mov_b32_e32 v24, 0
	s_add_i32 s6, s42, 1
	s_cmp_eq_u32 s36, 2
	s_mov_b32 s5, 0
	s_cbranch_scc1 .LBB23_8
; %bb.5:
	v_mov_b32_e32 v2, 0
	v_mov_b32_e32 v24, 0
	;; [unrolled: 1-line block ×3, first 2 shown]
	s_and_b32 s5, s6, 28
	s_mov_b32 s7, 0
	s_mov_b64 s[0:1], s[34:35]
	s_mov_b64 s[2:3], s[14:15]
.LBB23_6:                               ; =>This Inner Loop Header: Depth=1
	s_clause 0x1
	s_load_b256 s[48:55], s[2:3], 0x4
	s_load_b128 s[8:11], s[2:3], 0x24
	s_load_b256 s[56:63], s[0:1], 0x0
	s_add_u32 s2, s2, 48
	s_addc_u32 s3, s3, 0
	s_add_i32 s7, s7, 4
	s_add_u32 s0, s0, 32
	s_addc_u32 s1, s1, 0
	s_cmp_lg_u32 s5, s7
	s_waitcnt lgkmcnt(0)
	v_mul_hi_u32 v1, s49, v0
	s_delay_alu instid0(VALU_DEP_1) | instskip(NEXT) | instid1(VALU_DEP_1)
	v_add_nc_u32_e32 v1, v0, v1
	v_lshrrev_b32_e32 v1, s50, v1
	s_delay_alu instid0(VALU_DEP_1) | instskip(SKIP_1) | instid1(VALU_DEP_2)
	v_mul_hi_u32 v3, s52, v1
	v_mul_lo_u32 v5, v1, s48
	v_add_nc_u32_e32 v3, v1, v3
	s_delay_alu instid0(VALU_DEP_2) | instskip(NEXT) | instid1(VALU_DEP_2)
	v_sub_nc_u32_e32 v0, v0, v5
	v_lshrrev_b32_e32 v3, s53, v3
	s_delay_alu instid0(VALU_DEP_2) | instskip(SKIP_1) | instid1(VALU_DEP_3)
	v_mul_lo_u32 v5, v0, s56
	v_mul_lo_u32 v7, v0, s57
	v_mul_hi_u32 v4, s55, v3
	s_delay_alu instid0(VALU_DEP_1) | instskip(NEXT) | instid1(VALU_DEP_1)
	v_add_nc_u32_e32 v4, v3, v4
	v_lshrrev_b32_e32 v4, s8, v4
	s_delay_alu instid0(VALU_DEP_1) | instskip(SKIP_1) | instid1(VALU_DEP_2)
	v_mul_hi_u32 v6, s10, v4
	v_mul_lo_u32 v8, v4, s54
	v_add_nc_u32_e32 v0, v4, v6
	v_mul_lo_u32 v6, v3, s51
	s_delay_alu instid0(VALU_DEP_3) | instskip(NEXT) | instid1(VALU_DEP_3)
	v_sub_nc_u32_e32 v3, v3, v8
	v_lshrrev_b32_e32 v0, s11, v0
	s_delay_alu instid0(VALU_DEP_2) | instskip(SKIP_2) | instid1(VALU_DEP_4)
	v_mul_lo_u32 v8, v3, s60
	v_mul_lo_u32 v3, v3, s61
	v_sub_nc_u32_e32 v1, v1, v6
	v_mul_lo_u32 v9, v0, s9
	s_delay_alu instid0(VALU_DEP_2) | instskip(SKIP_1) | instid1(VALU_DEP_3)
	v_mul_lo_u32 v6, v1, s58
	v_mul_lo_u32 v1, v1, s59
	v_sub_nc_u32_e32 v4, v4, v9
	s_delay_alu instid0(VALU_DEP_3) | instskip(NEXT) | instid1(VALU_DEP_2)
	v_add3_u32 v5, v5, v24, v6
	v_mul_lo_u32 v9, v4, s62
	v_mul_lo_u32 v4, v4, s63
	v_add3_u32 v1, v7, v2, v1
	s_delay_alu instid0(VALU_DEP_3) | instskip(NEXT) | instid1(VALU_DEP_2)
	v_add3_u32 v24, v8, v5, v9
	v_add3_u32 v2, v3, v1, v4
	s_cbranch_scc1 .LBB23_6
	s_branch .LBB23_9
.LBB23_7:
	s_mov_b32 s4, -1
                                        ; implicit-def: $vgpr24
                                        ; implicit-def: $vgpr2
	s_branch .LBB23_12
.LBB23_8:
	v_mov_b32_e32 v0, v25
	v_mov_b32_e32 v2, 0
.LBB23_9:
	s_and_b32 s6, s6, 3
	s_delay_alu instid0(SALU_CYCLE_1)
	s_cmp_eq_u32 s6, 0
	s_cbranch_scc1 .LBB23_12
; %bb.10:
	s_lshl_b32 s0, s5, 3
	s_mul_i32 s2, s5, 12
	s_add_u32 s0, s0, s14
	s_addc_u32 s1, s15, 0
	s_add_u32 s0, s0, 0xc4
	s_addc_u32 s1, s1, 0
	;; [unrolled: 2-line block ×3, first 2 shown]
	.p2align	6
.LBB23_11:                              ; =>This Inner Loop Header: Depth=1
	s_clause 0x1
	s_load_b64 s[8:9], s[2:3], 0x4
	s_load_b32 s5, s[2:3], 0xc
	s_load_b64 s[10:11], s[0:1], 0x0
	s_add_u32 s2, s2, 12
	s_addc_u32 s3, s3, 0
	s_add_u32 s0, s0, 8
	s_addc_u32 s1, s1, 0
	s_add_i32 s6, s6, -1
	s_delay_alu instid0(SALU_CYCLE_1) | instskip(SKIP_2) | instid1(VALU_DEP_1)
	s_cmp_lg_u32 s6, 0
	s_waitcnt lgkmcnt(0)
	v_mul_hi_u32 v1, s9, v0
	v_add_nc_u32_e32 v1, v0, v1
	s_delay_alu instid0(VALU_DEP_1) | instskip(NEXT) | instid1(VALU_DEP_1)
	v_lshrrev_b32_e32 v1, s5, v1
	v_mul_lo_u32 v3, v1, s8
	s_delay_alu instid0(VALU_DEP_1) | instskip(NEXT) | instid1(VALU_DEP_1)
	v_sub_nc_u32_e32 v0, v0, v3
	v_mad_u64_u32 v[3:4], null, v0, s10, v[24:25]
	s_delay_alu instid0(VALU_DEP_1) | instskip(SKIP_2) | instid1(VALU_DEP_2)
	v_mov_b32_e32 v24, v3
	v_mad_u64_u32 v[4:5], null, v0, s11, v[2:3]
	v_mov_b32_e32 v0, v1
	v_mov_b32_e32 v2, v4
	s_cbranch_scc1 .LBB23_11
.LBB23_12:
	s_and_not1_b32 vcc_lo, exec_lo, s4
	s_cbranch_vccnz .LBB23_15
; %bb.13:
	s_waitcnt lgkmcnt(0)
	v_mul_hi_u32 v0, s25, v25
	s_and_not1_b32 vcc_lo, exec_lo, s40
	s_delay_alu instid0(VALU_DEP_1) | instskip(NEXT) | instid1(VALU_DEP_1)
	v_add_nc_u32_e32 v0, v25, v0
	v_lshrrev_b32_e32 v0, s26, v0
	s_delay_alu instid0(VALU_DEP_1) | instskip(NEXT) | instid1(VALU_DEP_1)
	v_mul_lo_u32 v1, v0, s24
	v_sub_nc_u32_e32 v1, v25, v1
	s_delay_alu instid0(VALU_DEP_1)
	v_mul_lo_u32 v24, v1, s20
	v_mul_lo_u32 v2, v1, s21
	s_cbranch_vccnz .LBB23_15
; %bb.14:
	v_mul_hi_u32 v1, s28, v0
	s_delay_alu instid0(VALU_DEP_1) | instskip(NEXT) | instid1(VALU_DEP_1)
	v_add_nc_u32_e32 v1, v0, v1
	v_lshrrev_b32_e32 v1, s29, v1
	s_delay_alu instid0(VALU_DEP_1) | instskip(NEXT) | instid1(VALU_DEP_1)
	v_mul_lo_u32 v1, v1, s27
	v_sub_nc_u32_e32 v5, v0, v1
	s_delay_alu instid0(VALU_DEP_1) | instskip(SKIP_1) | instid1(VALU_DEP_2)
	v_mad_u64_u32 v[0:1], null, v5, s22, v[24:25]
	v_mad_u64_u32 v[3:4], null, v5, s23, v[2:3]
	v_mov_b32_e32 v24, v0
	s_delay_alu instid0(VALU_DEP_2)
	v_mov_b32_e32 v2, v3
.LBB23_15:
	s_waitcnt lgkmcnt(0)
	v_dual_mov_b32 v0, s18 :: v_dual_mov_b32 v1, s19
	v_mov_b32_e32 v3, v23
	s_getpc_b64 s[0:1]
	s_add_u32 s0, s0, _ZN2at6native6invokeIZZZNS0_12_GLOBAL__N_130modified_bessel_k0_kernel_cudaERNS_18TensorIteratorBaseEENKUlvE_clEvENKUlvE0_clEvEUlfE_j15function_traitsIS7_EEENT1_11result_typeERKT_PrKPcPKT0_PKN3c1010ScalarTypeEi@rel32@lo+4
	s_addc_u32 s1, s1, _ZN2at6native6invokeIZZZNS0_12_GLOBAL__N_130modified_bessel_k0_kernel_cudaERNS_18TensorIteratorBaseEENKUlvE_clEvENKUlvE0_clEvEUlfE_j15function_traitsIS7_EEENT1_11result_typeERKT_PrKPcPKT0_PKN3c1010ScalarTypeEi@rel32@hi+12
	s_delay_alu instid0(SALU_CYCLE_1) | instskip(SKIP_2) | instid1(VALU_DEP_1)
	s_swappc_b64 s[30:31], s[0:1]
	v_and_b32_e32 v4, 0xff, v26
	v_add_co_u32 v2, s1, s16, v24
	v_add_co_ci_u32_e64 v3, null, s17, 0, s1
	s_delay_alu instid0(VALU_DEP_3)
	v_cmp_gt_i16_e32 vcc_lo, 11, v4
	s_mov_b32 s0, 0
	s_mov_b32 s2, -1
	s_mov_b32 s1, 0
	s_cbranch_vccnz .LBB23_93
; %bb.16:
	v_cmp_lt_i16_e32 vcc_lo, 25, v4
	s_cbranch_vccz .LBB23_49
; %bb.17:
	v_cmp_lt_i16_e32 vcc_lo, 28, v4
	s_cbranch_vccz .LBB23_32
	;; [unrolled: 3-line block ×4, first 2 shown]
; %bb.20:
	v_cmp_eq_u16_e32 vcc_lo, 46, v4
	s_mov_b32 s2, 0
	s_mov_b32 s0, -1
	s_cbranch_vccz .LBB23_22
; %bb.21:
	v_bfe_u32 v1, v0, 16, 1
	v_cmp_o_f32_e32 vcc_lo, v0, v0
	s_mov_b32 s1, -1
	s_mov_b32 s0, 0
	s_delay_alu instid0(VALU_DEP_2) | instskip(NEXT) | instid1(VALU_DEP_1)
	v_add3_u32 v1, v0, v1, 0x7fff
	v_lshrrev_b32_e32 v1, 16, v1
	s_delay_alu instid0(VALU_DEP_1)
	v_cndmask_b32_e32 v1, 0x7fc0, v1, vcc_lo
	global_store_b32 v[2:3], v1, off
.LBB23_22:
	s_and_b32 vcc_lo, exec_lo, s2
	s_cbranch_vccz .LBB23_27
; %bb.23:
	v_cmp_eq_u16_e32 vcc_lo, 44, v4
	s_mov_b32 s0, -1
	s_cbranch_vccz .LBB23_27
; %bb.24:
	v_bfe_u32 v5, v0, 23, 8
	v_mov_b32_e32 v1, 0xff
	s_mov_b32 s1, exec_lo
	s_delay_alu instid0(VALU_DEP_2)
	v_cmpx_ne_u32_e32 0xff, v5
; %bb.25:
	v_and_b32_e32 v1, 0x400000, v0
	v_and_or_b32 v5, 0x3fffff, v0, v5
	s_delay_alu instid0(VALU_DEP_2) | instskip(NEXT) | instid1(VALU_DEP_2)
	v_cmp_ne_u32_e32 vcc_lo, 0, v1
	v_cmp_ne_u32_e64 s0, 0, v5
	v_lshrrev_b32_e32 v1, 23, v0
	s_delay_alu instid0(VALU_DEP_2) | instskip(NEXT) | instid1(SALU_CYCLE_1)
	s_and_b32 s0, vcc_lo, s0
	v_cndmask_b32_e64 v5, 0, 1, s0
	s_delay_alu instid0(VALU_DEP_1)
	v_add_nc_u32_e32 v1, v1, v5
; %bb.26:
	s_or_b32 exec_lo, exec_lo, s1
	s_mov_b32 s1, -1
	s_mov_b32 s0, 0
	global_store_b8 v[2:3], v1, off
.LBB23_27:
	s_mov_b32 s2, 0
.LBB23_28:
	s_delay_alu instid0(SALU_CYCLE_1)
	s_and_b32 vcc_lo, exec_lo, s2
	s_cbranch_vccz .LBB23_31
; %bb.29:
	v_cmp_eq_u16_e32 vcc_lo, 29, v4
	s_mov_b32 s0, -1
	s_cbranch_vccz .LBB23_31
; %bb.30:
	v_trunc_f32_e32 v1, v0
	s_mov_b32 s1, -1
	s_mov_b32 s0, 0
	s_delay_alu instid0(VALU_DEP_1) | instskip(NEXT) | instid1(VALU_DEP_1)
	v_mul_f32_e32 v5, 0x2f800000, v1
	v_floor_f32_e32 v5, v5
	s_delay_alu instid0(VALU_DEP_1) | instskip(SKIP_1) | instid1(VALU_DEP_2)
	v_fmamk_f32 v1, v5, 0xcf800000, v1
	v_cvt_u32_f32_e32 v6, v5
	v_cvt_u32_f32_e32 v5, v1
	global_store_b64 v[2:3], v[5:6], off
.LBB23_31:
	s_mov_b32 s2, 0
.LBB23_32:
	s_delay_alu instid0(SALU_CYCLE_1)
	s_and_b32 vcc_lo, exec_lo, s2
	s_cbranch_vccz .LBB23_48
; %bb.33:
	v_cmp_gt_i16_e32 vcc_lo, 27, v4
	s_mov_b32 s1, -1
	s_cbranch_vccnz .LBB23_39
; %bb.34:
	v_cmp_lt_i16_e32 vcc_lo, 27, v4
	v_cvt_u32_f32_e32 v1, v0
	s_cbranch_vccz .LBB23_36
; %bb.35:
	s_mov_b32 s1, 0
	global_store_b32 v[2:3], v1, off
.LBB23_36:
	s_and_not1_b32 vcc_lo, exec_lo, s1
	s_cbranch_vccnz .LBB23_38
; %bb.37:
	global_store_b16 v[2:3], v1, off
.LBB23_38:
	s_mov_b32 s1, 0
.LBB23_39:
	s_delay_alu instid0(SALU_CYCLE_1)
	s_and_not1_b32 vcc_lo, exec_lo, s1
	s_cbranch_vccnz .LBB23_47
; %bb.40:
	v_and_b32_e32 v1, 0x7fffffff, v0
	v_mov_b32_e32 v5, 0x80
	s_mov_b32 s1, exec_lo
	s_delay_alu instid0(VALU_DEP_2)
	v_cmpx_gt_u32_e32 0x43800000, v1
	s_cbranch_execz .LBB23_46
; %bb.41:
	v_cmp_lt_u32_e32 vcc_lo, 0x3bffffff, v1
	s_mov_b32 s2, 0
                                        ; implicit-def: $vgpr1
	s_and_saveexec_b32 s3, vcc_lo
	s_delay_alu instid0(SALU_CYCLE_1)
	s_xor_b32 s3, exec_lo, s3
	s_cbranch_execz .LBB23_772
; %bb.42:
	v_bfe_u32 v1, v0, 20, 1
	s_mov_b32 s2, exec_lo
	s_delay_alu instid0(VALU_DEP_1) | instskip(NEXT) | instid1(VALU_DEP_1)
	v_add3_u32 v1, v0, v1, 0x487ffff
	v_lshrrev_b32_e32 v1, 20, v1
	s_or_saveexec_b32 s3, s3
                                        ; implicit-def: $sgpr4
	s_delay_alu instid0(SALU_CYCLE_1)
	s_xor_b32 exec_lo, exec_lo, s3
	s_cbranch_execnz .LBB23_773
.LBB23_43:
	s_or_b32 exec_lo, exec_lo, s3
	v_mov_b32_e32 v5, s4
	s_and_saveexec_b32 s3, s2
.LBB23_44:
	v_lshrrev_b32_e32 v5, 24, v0
	s_delay_alu instid0(VALU_DEP_1)
	v_and_or_b32 v5, 0x80, v5, v1
.LBB23_45:
	s_or_b32 exec_lo, exec_lo, s3
.LBB23_46:
	s_delay_alu instid0(SALU_CYCLE_1)
	s_or_b32 exec_lo, exec_lo, s1
	global_store_b8 v[2:3], v5, off
.LBB23_47:
	s_mov_b32 s1, -1
.LBB23_48:
	s_mov_b32 s2, 0
.LBB23_49:
	s_delay_alu instid0(SALU_CYCLE_1)
	s_and_b32 vcc_lo, exec_lo, s2
	s_cbranch_vccz .LBB23_90
; %bb.50:
	v_cmp_lt_i16_e32 vcc_lo, 22, v4
	s_mov_b32 s2, -1
	s_cbranch_vccz .LBB23_82
; %bb.51:
	v_cmp_gt_i16_e32 vcc_lo, 24, v4
	s_mov_b32 s1, -1
	s_cbranch_vccnz .LBB23_71
; %bb.52:
	v_cmp_lt_i16_e32 vcc_lo, 24, v4
	s_cbranch_vccz .LBB23_60
; %bb.53:
	v_and_b32_e32 v1, 0x7fffffff, v0
	v_mov_b32_e32 v5, 0x80
	s_mov_b32 s1, exec_lo
	s_delay_alu instid0(VALU_DEP_2)
	v_cmpx_gt_u32_e32 0x47800000, v1
	s_cbranch_execz .LBB23_59
; %bb.54:
	v_cmp_lt_u32_e32 vcc_lo, 0x37ffffff, v1
	s_mov_b32 s2, 0
                                        ; implicit-def: $vgpr1
	s_and_saveexec_b32 s3, vcc_lo
	s_delay_alu instid0(SALU_CYCLE_1)
	s_xor_b32 s3, exec_lo, s3
	s_cbranch_execz .LBB23_783
; %bb.55:
	v_bfe_u32 v1, v0, 21, 1
	s_mov_b32 s2, exec_lo
	s_delay_alu instid0(VALU_DEP_1) | instskip(NEXT) | instid1(VALU_DEP_1)
	v_add3_u32 v1, v0, v1, 0x88fffff
	v_lshrrev_b32_e32 v1, 21, v1
	s_or_saveexec_b32 s3, s3
                                        ; implicit-def: $sgpr4
	s_delay_alu instid0(SALU_CYCLE_1)
	s_xor_b32 exec_lo, exec_lo, s3
	s_cbranch_execnz .LBB23_784
.LBB23_56:
	s_or_b32 exec_lo, exec_lo, s3
	v_mov_b32_e32 v5, s4
	s_and_saveexec_b32 s3, s2
.LBB23_57:
	v_lshrrev_b32_e32 v5, 24, v0
	s_delay_alu instid0(VALU_DEP_1)
	v_and_or_b32 v5, 0x80, v5, v1
.LBB23_58:
	s_or_b32 exec_lo, exec_lo, s3
.LBB23_59:
	s_delay_alu instid0(SALU_CYCLE_1)
	s_or_b32 exec_lo, exec_lo, s1
	s_mov_b32 s1, 0
	global_store_b8 v[2:3], v5, off
.LBB23_60:
	s_and_b32 vcc_lo, exec_lo, s1
	s_cbranch_vccz .LBB23_70
; %bb.61:
	v_and_b32_e32 v5, 0x7fffffff, v0
	s_mov_b32 s1, exec_lo
                                        ; implicit-def: $vgpr1
	s_delay_alu instid0(VALU_DEP_1)
	v_cmpx_gt_u32_e32 0x43f00000, v5
	s_xor_b32 s1, exec_lo, s1
	s_cbranch_execz .LBB23_67
; %bb.62:
	s_mov_b32 s2, exec_lo
                                        ; implicit-def: $vgpr1
	v_cmpx_lt_u32_e32 0x3c7fffff, v5
	s_xor_b32 s2, exec_lo, s2
; %bb.63:
	v_bfe_u32 v1, v0, 20, 1
	s_delay_alu instid0(VALU_DEP_1) | instskip(NEXT) | instid1(VALU_DEP_1)
	v_add3_u32 v1, v0, v1, 0x407ffff
	v_and_b32_e32 v5, 0xff00000, v1
	v_lshrrev_b32_e32 v1, 20, v1
	s_delay_alu instid0(VALU_DEP_2) | instskip(NEXT) | instid1(VALU_DEP_2)
	v_cmp_ne_u32_e32 vcc_lo, 0x7f00000, v5
	v_cndmask_b32_e32 v1, 0x7e, v1, vcc_lo
; %bb.64:
	s_and_not1_saveexec_b32 s2, s2
; %bb.65:
	v_add_f32_e64 v1, 0x46800000, |v0|
; %bb.66:
	s_or_b32 exec_lo, exec_lo, s2
                                        ; implicit-def: $vgpr5
.LBB23_67:
	s_and_not1_saveexec_b32 s1, s1
; %bb.68:
	v_mov_b32_e32 v1, 0x7f
	v_cmp_lt_u32_e32 vcc_lo, 0x7f800000, v5
	s_delay_alu instid0(VALU_DEP_2)
	v_cndmask_b32_e32 v1, 0x7e, v1, vcc_lo
; %bb.69:
	s_or_b32 exec_lo, exec_lo, s1
	v_lshrrev_b32_e32 v5, 24, v0
	s_delay_alu instid0(VALU_DEP_1)
	v_and_or_b32 v1, 0x80, v5, v1
	global_store_b8 v[2:3], v1, off
.LBB23_70:
	s_mov_b32 s1, 0
.LBB23_71:
	s_delay_alu instid0(SALU_CYCLE_1)
	s_and_not1_b32 vcc_lo, exec_lo, s1
	s_cbranch_vccnz .LBB23_81
; %bb.72:
	v_and_b32_e32 v5, 0x7fffffff, v0
	s_mov_b32 s1, exec_lo
                                        ; implicit-def: $vgpr1
	s_delay_alu instid0(VALU_DEP_1)
	v_cmpx_gt_u32_e32 0x47800000, v5
	s_xor_b32 s1, exec_lo, s1
	s_cbranch_execz .LBB23_78
; %bb.73:
	s_mov_b32 s2, exec_lo
                                        ; implicit-def: $vgpr1
	v_cmpx_lt_u32_e32 0x387fffff, v5
	s_xor_b32 s2, exec_lo, s2
; %bb.74:
	v_bfe_u32 v1, v0, 21, 1
	s_delay_alu instid0(VALU_DEP_1) | instskip(NEXT) | instid1(VALU_DEP_1)
	v_add3_u32 v1, v0, v1, 0x80fffff
	v_lshrrev_b32_e32 v1, 21, v1
; %bb.75:
	s_and_not1_saveexec_b32 s2, s2
; %bb.76:
	v_add_f32_e64 v1, 0x43000000, |v0|
; %bb.77:
	s_or_b32 exec_lo, exec_lo, s2
                                        ; implicit-def: $vgpr5
.LBB23_78:
	s_and_not1_saveexec_b32 s1, s1
; %bb.79:
	v_mov_b32_e32 v1, 0x7f
	v_cmp_lt_u32_e32 vcc_lo, 0x7f800000, v5
	s_delay_alu instid0(VALU_DEP_2)
	v_cndmask_b32_e32 v1, 0x7c, v1, vcc_lo
; %bb.80:
	s_or_b32 exec_lo, exec_lo, s1
	v_lshrrev_b32_e32 v5, 24, v0
	s_delay_alu instid0(VALU_DEP_1)
	v_and_or_b32 v1, 0x80, v5, v1
	global_store_b8 v[2:3], v1, off
.LBB23_81:
	s_mov_b32 s2, 0
	s_mov_b32 s1, -1
.LBB23_82:
	s_and_not1_b32 vcc_lo, exec_lo, s2
	s_cbranch_vccnz .LBB23_90
; %bb.83:
	v_cmp_lt_i16_e32 vcc_lo, 14, v4
	s_mov_b32 s2, -1
	s_cbranch_vccz .LBB23_87
; %bb.84:
	v_cmp_eq_u16_e32 vcc_lo, 15, v4
	s_mov_b32 s0, -1
	s_cbranch_vccz .LBB23_86
; %bb.85:
	v_bfe_u32 v1, v0, 16, 1
	v_cmp_o_f32_e32 vcc_lo, v0, v0
	s_mov_b32 s1, -1
	s_mov_b32 s0, 0
	s_delay_alu instid0(VALU_DEP_2) | instskip(NEXT) | instid1(VALU_DEP_1)
	v_add3_u32 v1, v0, v1, 0x7fff
	v_lshrrev_b32_e32 v1, 16, v1
	s_delay_alu instid0(VALU_DEP_1)
	v_cndmask_b32_e32 v1, 0x7fc0, v1, vcc_lo
	global_store_b16 v[2:3], v1, off
.LBB23_86:
	s_mov_b32 s2, 0
.LBB23_87:
	s_delay_alu instid0(SALU_CYCLE_1)
	s_and_b32 vcc_lo, exec_lo, s2
	s_cbranch_vccz .LBB23_90
; %bb.88:
	v_cmp_eq_u16_e32 vcc_lo, 11, v4
	s_mov_b32 s0, -1
	s_cbranch_vccz .LBB23_90
; %bb.89:
	v_cmp_neq_f32_e32 vcc_lo, 0, v0
	s_mov_b32 s0, 0
	s_mov_b32 s1, -1
	v_cndmask_b32_e64 v1, 0, 1, vcc_lo
	global_store_b8 v[2:3], v1, off
.LBB23_90:
.LBB23_91:
	s_and_not1_b32 vcc_lo, exec_lo, s1
	s_cbranch_vccnz .LBB23_132
.LBB23_92:
	v_add_nc_u32_e32 v25, 0x80, v25
	s_mov_b32 s1, -1
	s_branch .LBB23_133
.LBB23_93:
	s_and_b32 vcc_lo, exec_lo, s2
	s_cbranch_vccz .LBB23_91
; %bb.94:
	v_cmp_gt_i16_e32 vcc_lo, 5, v4
	s_mov_b32 s1, -1
	s_cbranch_vccnz .LBB23_115
; %bb.95:
	v_cmp_gt_i16_e32 vcc_lo, 8, v4
	s_cbranch_vccnz .LBB23_105
; %bb.96:
	v_cmp_gt_i16_e32 vcc_lo, 9, v4
	s_cbranch_vccnz .LBB23_102
; %bb.97:
	v_cmp_lt_i16_e32 vcc_lo, 9, v4
	s_cbranch_vccz .LBB23_99
; %bb.98:
	v_cvt_f64_f32_e32 v[5:6], v0
	v_mov_b32_e32 v7, 0
	s_mov_b32 s1, 0
	s_delay_alu instid0(VALU_DEP_1)
	v_mov_b32_e32 v8, v7
	global_store_b128 v[2:3], v[5:8], off
.LBB23_99:
	s_and_not1_b32 vcc_lo, exec_lo, s1
	s_cbranch_vccnz .LBB23_101
; %bb.100:
	v_mov_b32_e32 v1, 0
	global_store_b64 v[2:3], v[0:1], off
.LBB23_101:
	s_mov_b32 s1, 0
.LBB23_102:
	s_delay_alu instid0(SALU_CYCLE_1)
	s_and_not1_b32 vcc_lo, exec_lo, s1
	s_cbranch_vccnz .LBB23_104
; %bb.103:
	v_cvt_f16_f32_e32 v1, v0
	s_delay_alu instid0(VALU_DEP_1)
	v_and_b32_e32 v1, 0xffff, v1
	global_store_b32 v[2:3], v1, off
.LBB23_104:
	s_mov_b32 s1, 0
.LBB23_105:
	s_delay_alu instid0(SALU_CYCLE_1)
	s_and_not1_b32 vcc_lo, exec_lo, s1
	s_cbranch_vccnz .LBB23_114
; %bb.106:
	v_cmp_gt_i16_e32 vcc_lo, 6, v4
	s_mov_b32 s1, -1
	s_cbranch_vccnz .LBB23_112
; %bb.107:
	v_cmp_lt_i16_e32 vcc_lo, 6, v4
	s_cbranch_vccz .LBB23_109
; %bb.108:
	v_cvt_f64_f32_e32 v[5:6], v0
	s_mov_b32 s1, 0
	global_store_b64 v[2:3], v[5:6], off
.LBB23_109:
	s_and_not1_b32 vcc_lo, exec_lo, s1
	s_cbranch_vccnz .LBB23_111
; %bb.110:
	global_store_b32 v[2:3], v0, off
.LBB23_111:
	s_mov_b32 s1, 0
.LBB23_112:
	s_delay_alu instid0(SALU_CYCLE_1)
	s_and_not1_b32 vcc_lo, exec_lo, s1
	s_cbranch_vccnz .LBB23_114
; %bb.113:
	v_cvt_f16_f32_e32 v1, v0
	global_store_b16 v[2:3], v1, off
.LBB23_114:
	s_mov_b32 s1, 0
.LBB23_115:
	s_delay_alu instid0(SALU_CYCLE_1)
	s_and_not1_b32 vcc_lo, exec_lo, s1
	s_cbranch_vccnz .LBB23_131
; %bb.116:
	v_cmp_gt_i16_e32 vcc_lo, 2, v4
	s_mov_b32 s1, -1
	s_cbranch_vccnz .LBB23_126
; %bb.117:
	v_cmp_gt_i16_e32 vcc_lo, 3, v4
	s_cbranch_vccnz .LBB23_123
; %bb.118:
	v_cmp_lt_i16_e32 vcc_lo, 3, v4
	s_cbranch_vccz .LBB23_120
; %bb.119:
	v_trunc_f32_e32 v1, v0
	s_mov_b32 s1, 0
	s_delay_alu instid0(VALU_DEP_1) | instskip(NEXT) | instid1(VALU_DEP_1)
	v_mul_f32_e64 v5, 0x2f800000, |v1|
	v_floor_f32_e32 v5, v5
	s_delay_alu instid0(VALU_DEP_1) | instskip(SKIP_2) | instid1(VALU_DEP_3)
	v_fma_f32 v6, 0xcf800000, v5, |v1|
	v_ashrrev_i32_e32 v1, 31, v1
	v_cvt_u32_f32_e32 v5, v5
	v_cvt_u32_f32_e32 v6, v6
	s_delay_alu instid0(VALU_DEP_2) | instskip(NEXT) | instid1(VALU_DEP_2)
	v_xor_b32_e32 v7, v5, v1
	v_xor_b32_e32 v6, v6, v1
	s_delay_alu instid0(VALU_DEP_1) | instskip(NEXT) | instid1(VALU_DEP_3)
	v_sub_co_u32 v5, vcc_lo, v6, v1
	v_sub_co_ci_u32_e32 v6, vcc_lo, v7, v1, vcc_lo
	global_store_b64 v[2:3], v[5:6], off
.LBB23_120:
	s_and_not1_b32 vcc_lo, exec_lo, s1
	s_cbranch_vccnz .LBB23_122
; %bb.121:
	v_cvt_i32_f32_e32 v1, v0
	global_store_b32 v[2:3], v1, off
.LBB23_122:
	s_mov_b32 s1, 0
.LBB23_123:
	s_delay_alu instid0(SALU_CYCLE_1)
	s_and_not1_b32 vcc_lo, exec_lo, s1
	s_cbranch_vccnz .LBB23_125
; %bb.124:
	v_cvt_i32_f32_e32 v1, v0
	global_store_b16 v[2:3], v1, off
.LBB23_125:
	s_mov_b32 s1, 0
.LBB23_126:
	s_delay_alu instid0(SALU_CYCLE_1)
	s_and_not1_b32 vcc_lo, exec_lo, s1
	s_cbranch_vccnz .LBB23_131
; %bb.127:
	v_cmp_lt_i16_e32 vcc_lo, 0, v4
	s_mov_b32 s1, -1
	s_cbranch_vccz .LBB23_129
; %bb.128:
	v_cvt_i32_f32_e32 v1, v0
	s_mov_b32 s1, 0
	global_store_b8 v[2:3], v1, off
.LBB23_129:
	s_and_not1_b32 vcc_lo, exec_lo, s1
	s_cbranch_vccnz .LBB23_131
; %bb.130:
	v_trunc_f32_e32 v0, v0
	s_delay_alu instid0(VALU_DEP_1) | instskip(NEXT) | instid1(VALU_DEP_1)
	v_mul_f32_e64 v1, 0x2f800000, |v0|
	v_floor_f32_e32 v1, v1
	s_delay_alu instid0(VALU_DEP_1) | instskip(SKIP_1) | instid1(VALU_DEP_2)
	v_fma_f32 v1, 0xcf800000, v1, |v0|
	v_ashrrev_i32_e32 v0, 31, v0
	v_cvt_u32_f32_e32 v1, v1
	s_delay_alu instid0(VALU_DEP_1) | instskip(NEXT) | instid1(VALU_DEP_1)
	v_xor_b32_e32 v1, v1, v0
	v_sub_nc_u32_e32 v0, v1, v0
	global_store_b8 v[2:3], v0, off
.LBB23_131:
	s_branch .LBB23_92
.LBB23_132:
	s_mov_b32 s1, 0
                                        ; implicit-def: $vgpr25
.LBB23_133:
	s_and_b32 s44, s0, exec_lo
	s_or_not1_b32 s0, s1, exec_lo
.LBB23_134:
	s_or_b32 exec_lo, exec_lo, s45
	s_mov_b32 s1, 0
                                        ; implicit-def: $vgpr4
                                        ; implicit-def: $vgpr2_vgpr3
                                        ; implicit-def: $vgpr0
	s_and_saveexec_b32 s45, s0
	s_cbranch_execz .LBB23_141
; %bb.135:
	s_mov_b32 s2, -1
	s_mov_b32 s46, s44
	s_mov_b32 s47, exec_lo
	v_cmpx_gt_i32_e64 s41, v25
	s_cbranch_execz .LBB23_858
; %bb.136:
	s_and_not1_b32 vcc_lo, exec_lo, s38
	s_cbranch_vccnz .LBB23_711
; %bb.137:
	v_mov_b32_e32 v24, 0
	v_mov_b32_e32 v2, 0
	s_and_not1_b32 vcc_lo, exec_lo, s43
	s_mov_b32 s4, 0
	s_cbranch_vccnz .LBB23_716
; %bb.138:
	v_mov_b32_e32 v24, 0
	s_add_i32 s6, s42, 1
	s_cmp_eq_u32 s36, 2
	s_mov_b32 s5, 0
	s_cbranch_scc1 .LBB23_712
; %bb.139:
	v_mov_b32_e32 v2, 0
	v_mov_b32_e32 v24, 0
	;; [unrolled: 1-line block ×3, first 2 shown]
	s_and_b32 s5, s6, 28
	s_mov_b32 s7, 0
	s_mov_b64 s[0:1], s[34:35]
	s_mov_b64 s[2:3], s[14:15]
.LBB23_140:                             ; =>This Inner Loop Header: Depth=1
	s_clause 0x1
	s_load_b256 s[48:55], s[2:3], 0x4
	s_load_b128 s[8:11], s[2:3], 0x24
	s_load_b256 s[56:63], s[0:1], 0x0
	s_add_u32 s2, s2, 48
	s_addc_u32 s3, s3, 0
	s_add_i32 s7, s7, 4
	s_add_u32 s0, s0, 32
	s_addc_u32 s1, s1, 0
	s_cmp_eq_u32 s5, s7
	s_waitcnt lgkmcnt(0)
	v_mul_hi_u32 v1, s49, v0
	s_delay_alu instid0(VALU_DEP_1) | instskip(NEXT) | instid1(VALU_DEP_1)
	v_add_nc_u32_e32 v1, v0, v1
	v_lshrrev_b32_e32 v1, s50, v1
	s_delay_alu instid0(VALU_DEP_1) | instskip(SKIP_1) | instid1(VALU_DEP_2)
	v_mul_hi_u32 v3, s52, v1
	v_mul_lo_u32 v5, v1, s48
	v_add_nc_u32_e32 v3, v1, v3
	s_delay_alu instid0(VALU_DEP_2) | instskip(NEXT) | instid1(VALU_DEP_2)
	v_sub_nc_u32_e32 v0, v0, v5
	v_lshrrev_b32_e32 v3, s53, v3
	s_delay_alu instid0(VALU_DEP_2) | instskip(SKIP_1) | instid1(VALU_DEP_3)
	v_mul_lo_u32 v5, v0, s56
	v_mul_lo_u32 v7, v0, s57
	v_mul_hi_u32 v4, s55, v3
	s_delay_alu instid0(VALU_DEP_1) | instskip(NEXT) | instid1(VALU_DEP_1)
	v_add_nc_u32_e32 v4, v3, v4
	v_lshrrev_b32_e32 v4, s8, v4
	s_delay_alu instid0(VALU_DEP_1) | instskip(SKIP_1) | instid1(VALU_DEP_2)
	v_mul_hi_u32 v6, s10, v4
	v_mul_lo_u32 v8, v4, s54
	v_add_nc_u32_e32 v0, v4, v6
	v_mul_lo_u32 v6, v3, s51
	s_delay_alu instid0(VALU_DEP_3) | instskip(NEXT) | instid1(VALU_DEP_3)
	v_sub_nc_u32_e32 v3, v3, v8
	v_lshrrev_b32_e32 v0, s11, v0
	s_delay_alu instid0(VALU_DEP_2) | instskip(SKIP_2) | instid1(VALU_DEP_4)
	v_mul_lo_u32 v8, v3, s60
	v_mul_lo_u32 v3, v3, s61
	v_sub_nc_u32_e32 v1, v1, v6
	v_mul_lo_u32 v9, v0, s9
	s_delay_alu instid0(VALU_DEP_2) | instskip(SKIP_1) | instid1(VALU_DEP_3)
	v_mul_lo_u32 v6, v1, s58
	v_mul_lo_u32 v1, v1, s59
	v_sub_nc_u32_e32 v4, v4, v9
	s_delay_alu instid0(VALU_DEP_3) | instskip(NEXT) | instid1(VALU_DEP_2)
	v_add3_u32 v5, v5, v24, v6
	v_mul_lo_u32 v9, v4, s62
	v_mul_lo_u32 v4, v4, s63
	v_add3_u32 v1, v7, v2, v1
	s_delay_alu instid0(VALU_DEP_3) | instskip(NEXT) | instid1(VALU_DEP_2)
	v_add3_u32 v24, v8, v5, v9
	v_add3_u32 v2, v3, v1, v4
	s_cbranch_scc0 .LBB23_140
	s_branch .LBB23_713
.LBB23_141:
	s_or_b32 exec_lo, exec_lo, s45
	s_mov_b32 s0, 0
	s_and_saveexec_b32 s2, s44
	s_cbranch_execnz .LBB23_1102
.LBB23_142:
	s_or_b32 exec_lo, exec_lo, s2
	s_and_saveexec_b32 s2, s46
	s_delay_alu instid0(SALU_CYCLE_1)
	s_xor_b32 s2, exec_lo, s2
	s_cbranch_execz .LBB23_144
.LBB23_143:
	v_cmp_neq_f32_e32 vcc_lo, 0, v0
	v_cndmask_b32_e64 v1, 0, 1, vcc_lo
	global_store_b8 v[2:3], v1, off
.LBB23_144:
	s_or_b32 exec_lo, exec_lo, s2
	s_and_saveexec_b32 s2, s1
	s_delay_alu instid0(SALU_CYCLE_1)
	s_xor_b32 s1, exec_lo, s2
	s_cbranch_execz .LBB23_182
; %bb.145:
	v_cmp_gt_i16_e32 vcc_lo, 5, v4
	s_mov_b32 s2, -1
	s_cbranch_vccnz .LBB23_166
; %bb.146:
	v_cmp_gt_i16_e32 vcc_lo, 8, v4
	s_cbranch_vccnz .LBB23_156
; %bb.147:
	v_cmp_gt_i16_e32 vcc_lo, 9, v4
	s_cbranch_vccnz .LBB23_153
; %bb.148:
	v_cmp_lt_i16_e32 vcc_lo, 9, v4
	s_cbranch_vccz .LBB23_150
; %bb.149:
	v_cvt_f64_f32_e32 v[5:6], v0
	v_mov_b32_e32 v7, 0
	s_mov_b32 s2, 0
	s_delay_alu instid0(VALU_DEP_1)
	v_mov_b32_e32 v8, v7
	global_store_b128 v[2:3], v[5:8], off
.LBB23_150:
	s_and_not1_b32 vcc_lo, exec_lo, s2
	s_cbranch_vccnz .LBB23_152
; %bb.151:
	v_mov_b32_e32 v1, 0
	global_store_b64 v[2:3], v[0:1], off
.LBB23_152:
	s_mov_b32 s2, 0
.LBB23_153:
	s_delay_alu instid0(SALU_CYCLE_1)
	s_and_not1_b32 vcc_lo, exec_lo, s2
	s_cbranch_vccnz .LBB23_155
; %bb.154:
	v_cvt_f16_f32_e32 v1, v0
	s_delay_alu instid0(VALU_DEP_1)
	v_and_b32_e32 v1, 0xffff, v1
	global_store_b32 v[2:3], v1, off
.LBB23_155:
	s_mov_b32 s2, 0
.LBB23_156:
	s_delay_alu instid0(SALU_CYCLE_1)
	s_and_not1_b32 vcc_lo, exec_lo, s2
	s_cbranch_vccnz .LBB23_165
; %bb.157:
	v_cmp_gt_i16_e32 vcc_lo, 6, v4
	s_mov_b32 s2, -1
	s_cbranch_vccnz .LBB23_163
; %bb.158:
	v_cmp_lt_i16_e32 vcc_lo, 6, v4
	s_cbranch_vccz .LBB23_160
; %bb.159:
	v_cvt_f64_f32_e32 v[5:6], v0
	s_mov_b32 s2, 0
	global_store_b64 v[2:3], v[5:6], off
.LBB23_160:
	s_and_not1_b32 vcc_lo, exec_lo, s2
	s_cbranch_vccnz .LBB23_162
; %bb.161:
	global_store_b32 v[2:3], v0, off
.LBB23_162:
	s_mov_b32 s2, 0
.LBB23_163:
	s_delay_alu instid0(SALU_CYCLE_1)
	s_and_not1_b32 vcc_lo, exec_lo, s2
	s_cbranch_vccnz .LBB23_165
; %bb.164:
	v_cvt_f16_f32_e32 v1, v0
	global_store_b16 v[2:3], v1, off
.LBB23_165:
	s_mov_b32 s2, 0
.LBB23_166:
	s_delay_alu instid0(SALU_CYCLE_1)
	s_and_not1_b32 vcc_lo, exec_lo, s2
	s_cbranch_vccnz .LBB23_182
; %bb.167:
	v_cmp_gt_i16_e32 vcc_lo, 2, v4
	s_mov_b32 s2, -1
	s_cbranch_vccnz .LBB23_177
; %bb.168:
	v_cmp_gt_i16_e32 vcc_lo, 3, v4
	s_cbranch_vccnz .LBB23_174
; %bb.169:
	v_cmp_lt_i16_e32 vcc_lo, 3, v4
	s_cbranch_vccz .LBB23_171
; %bb.170:
	v_trunc_f32_e32 v1, v0
	s_mov_b32 s2, 0
	s_delay_alu instid0(VALU_DEP_1) | instskip(NEXT) | instid1(VALU_DEP_1)
	v_mul_f32_e64 v5, 0x2f800000, |v1|
	v_floor_f32_e32 v5, v5
	s_delay_alu instid0(VALU_DEP_1) | instskip(SKIP_2) | instid1(VALU_DEP_3)
	v_fma_f32 v6, 0xcf800000, v5, |v1|
	v_ashrrev_i32_e32 v1, 31, v1
	v_cvt_u32_f32_e32 v5, v5
	v_cvt_u32_f32_e32 v6, v6
	s_delay_alu instid0(VALU_DEP_2) | instskip(NEXT) | instid1(VALU_DEP_2)
	v_xor_b32_e32 v7, v5, v1
	v_xor_b32_e32 v6, v6, v1
	s_delay_alu instid0(VALU_DEP_1) | instskip(NEXT) | instid1(VALU_DEP_3)
	v_sub_co_u32 v5, vcc_lo, v6, v1
	v_sub_co_ci_u32_e32 v6, vcc_lo, v7, v1, vcc_lo
	global_store_b64 v[2:3], v[5:6], off
.LBB23_171:
	s_and_not1_b32 vcc_lo, exec_lo, s2
	s_cbranch_vccnz .LBB23_173
; %bb.172:
	v_cvt_i32_f32_e32 v1, v0
	global_store_b32 v[2:3], v1, off
.LBB23_173:
	s_mov_b32 s2, 0
.LBB23_174:
	s_delay_alu instid0(SALU_CYCLE_1)
	s_and_not1_b32 vcc_lo, exec_lo, s2
	s_cbranch_vccnz .LBB23_176
; %bb.175:
	v_cvt_i32_f32_e32 v1, v0
	global_store_b16 v[2:3], v1, off
.LBB23_176:
	s_mov_b32 s2, 0
.LBB23_177:
	s_delay_alu instid0(SALU_CYCLE_1)
	s_and_not1_b32 vcc_lo, exec_lo, s2
	s_cbranch_vccnz .LBB23_182
; %bb.178:
	v_cmp_lt_i16_e32 vcc_lo, 0, v4
	s_mov_b32 s2, -1
	s_cbranch_vccz .LBB23_180
; %bb.179:
	v_cvt_i32_f32_e32 v1, v0
	s_mov_b32 s2, 0
	global_store_b8 v[2:3], v1, off
.LBB23_180:
	s_and_not1_b32 vcc_lo, exec_lo, s2
	s_cbranch_vccnz .LBB23_182
; %bb.181:
	v_trunc_f32_e32 v0, v0
	s_delay_alu instid0(VALU_DEP_1) | instskip(NEXT) | instid1(VALU_DEP_1)
	v_mul_f32_e64 v1, 0x2f800000, |v0|
	v_floor_f32_e32 v1, v1
	s_delay_alu instid0(VALU_DEP_1) | instskip(SKIP_1) | instid1(VALU_DEP_2)
	v_fma_f32 v1, 0xcf800000, v1, |v0|
	v_ashrrev_i32_e32 v0, 31, v0
	v_cvt_u32_f32_e32 v1, v1
	s_delay_alu instid0(VALU_DEP_1) | instskip(NEXT) | instid1(VALU_DEP_1)
	v_xor_b32_e32 v1, v1, v0
	v_sub_nc_u32_e32 v0, v1, v0
	global_store_b8 v[2:3], v0, off
.LBB23_182:
	s_or_b32 exec_lo, exec_lo, s1
	s_waitcnt lgkmcnt(0)
	s_and_b32 s16, s0, exec_lo
                                        ; implicit-def: $vgpr1
                                        ; implicit-def: $vgpr25
.LBB23_183:
	s_or_saveexec_b32 s17, s39
	s_mov_b32 s0, 0
                                        ; implicit-def: $vgpr4
                                        ; implicit-def: $vgpr2_vgpr3
                                        ; implicit-def: $vgpr0
	s_xor_b32 exec_lo, exec_lo, s17
	s_cbranch_execz .LBB23_668
; %bb.184:
	v_cndmask_b32_e64 v0, 0, 1, s38
	s_and_not1_b32 vcc_lo, exec_lo, s38
	s_cbranch_vccnz .LBB23_190
; %bb.185:
	v_dual_mov_b32 v31, 0 :: v_dual_mov_b32 v2, 0
	s_cmp_lg_u32 s33, 0
	s_mov_b32 s4, 0
	s_cbranch_scc0 .LBB23_194
; %bb.186:
	s_min_u32 s5, s36, 15
	v_mov_b32_e32 v31, 0
	s_add_i32 s5, s5, 1
	s_cmp_eq_u32 s36, 2
	s_mov_b32 s6, 0
	s_cbranch_scc1 .LBB23_191
; %bb.187:
	v_dual_mov_b32 v2, 0 :: v_dual_mov_b32 v31, 0
	v_mov_b32_e32 v3, v25
	s_add_u32 s0, s14, 0xc4
	s_addc_u32 s1, s15, 0
	s_and_b32 s6, s5, 28
	s_mov_b32 s7, 0
	s_mov_b64 s[2:3], s[14:15]
.LBB23_188:                             ; =>This Inner Loop Header: Depth=1
	s_clause 0x1
	s_load_b256 s[20:27], s[2:3], 0x4
	s_load_b128 s[8:11], s[2:3], 0x24
	s_load_b256 s[40:47], s[0:1], 0x0
	s_add_u32 s2, s2, 48
	s_addc_u32 s3, s3, 0
	s_add_i32 s7, s7, 4
	s_add_u32 s0, s0, 32
	s_addc_u32 s1, s1, 0
	s_cmp_lg_u32 s6, s7
	s_waitcnt lgkmcnt(0)
	v_mul_hi_u32 v4, s21, v3
	s_delay_alu instid0(VALU_DEP_1) | instskip(NEXT) | instid1(VALU_DEP_1)
	v_add_nc_u32_e32 v4, v3, v4
	v_lshrrev_b32_e32 v4, s22, v4
	s_delay_alu instid0(VALU_DEP_1) | instskip(SKIP_1) | instid1(VALU_DEP_2)
	v_mul_hi_u32 v5, s24, v4
	v_mul_lo_u32 v7, v4, s20
	v_add_nc_u32_e32 v5, v4, v5
	s_delay_alu instid0(VALU_DEP_2) | instskip(NEXT) | instid1(VALU_DEP_2)
	v_sub_nc_u32_e32 v3, v3, v7
	v_lshrrev_b32_e32 v5, s25, v5
	s_delay_alu instid0(VALU_DEP_2) | instskip(SKIP_1) | instid1(VALU_DEP_3)
	v_mul_lo_u32 v7, v3, s40
	v_mul_lo_u32 v9, v3, s41
	v_mul_hi_u32 v6, s27, v5
	s_delay_alu instid0(VALU_DEP_1) | instskip(NEXT) | instid1(VALU_DEP_1)
	v_add_nc_u32_e32 v6, v5, v6
	v_lshrrev_b32_e32 v6, s8, v6
	s_delay_alu instid0(VALU_DEP_1) | instskip(SKIP_1) | instid1(VALU_DEP_2)
	v_mul_hi_u32 v8, s10, v6
	v_mul_lo_u32 v10, v6, s26
	v_add_nc_u32_e32 v3, v6, v8
	v_mul_lo_u32 v8, v5, s23
	s_delay_alu instid0(VALU_DEP_3) | instskip(NEXT) | instid1(VALU_DEP_3)
	v_sub_nc_u32_e32 v5, v5, v10
	v_lshrrev_b32_e32 v3, s11, v3
	s_delay_alu instid0(VALU_DEP_2) | instskip(SKIP_2) | instid1(VALU_DEP_4)
	v_mul_lo_u32 v10, v5, s44
	v_mul_lo_u32 v5, v5, s45
	v_sub_nc_u32_e32 v4, v4, v8
	v_mul_lo_u32 v11, v3, s9
	s_delay_alu instid0(VALU_DEP_2) | instskip(SKIP_1) | instid1(VALU_DEP_3)
	v_mul_lo_u32 v8, v4, s42
	v_mul_lo_u32 v4, v4, s43
	v_sub_nc_u32_e32 v6, v6, v11
	s_delay_alu instid0(VALU_DEP_3) | instskip(NEXT) | instid1(VALU_DEP_2)
	v_add3_u32 v7, v7, v31, v8
	v_mul_lo_u32 v11, v6, s46
	v_mul_lo_u32 v6, v6, s47
	v_add3_u32 v2, v9, v2, v4
	s_delay_alu instid0(VALU_DEP_3) | instskip(NEXT) | instid1(VALU_DEP_2)
	v_add3_u32 v31, v10, v7, v11
	v_add3_u32 v2, v5, v2, v6
	s_cbranch_scc1 .LBB23_188
; %bb.189:
	s_and_b32 s5, s5, 3
	s_delay_alu instid0(SALU_CYCLE_1)
	s_cmp_eq_u32 s5, 0
	s_cbranch_scc0 .LBB23_192
	s_branch .LBB23_194
.LBB23_190:
	s_mov_b32 s4, -1
                                        ; implicit-def: $vgpr31
                                        ; implicit-def: $vgpr2
	s_branch .LBB23_194
.LBB23_191:
	v_dual_mov_b32 v3, v25 :: v_dual_mov_b32 v2, 0
	s_and_b32 s5, s5, 3
	s_delay_alu instid0(SALU_CYCLE_1)
	s_cmp_eq_u32 s5, 0
	s_cbranch_scc1 .LBB23_194
.LBB23_192:
	s_lshl_b32 s0, s6, 3
	s_mul_i32 s2, s6, 12
	s_add_u32 s0, s0, s14
	s_addc_u32 s1, 0, s15
	s_add_u32 s0, s0, 0xc4
	s_addc_u32 s1, s1, 0
	;; [unrolled: 2-line block ×3, first 2 shown]
	.p2align	6
.LBB23_193:                             ; =>This Inner Loop Header: Depth=1
	s_clause 0x1
	s_load_b64 s[6:7], s[2:3], 0x4
	s_load_b32 s10, s[2:3], 0xc
	s_load_b64 s[8:9], s[0:1], 0x0
	s_add_u32 s2, s2, 12
	s_addc_u32 s3, s3, 0
	s_add_u32 s0, s0, 8
	s_addc_u32 s1, s1, 0
	s_add_i32 s5, s5, -1
	s_delay_alu instid0(SALU_CYCLE_1) | instskip(SKIP_2) | instid1(VALU_DEP_1)
	s_cmp_lg_u32 s5, 0
	s_waitcnt lgkmcnt(0)
	v_mul_hi_u32 v4, s7, v3
	v_add_nc_u32_e32 v4, v3, v4
	s_delay_alu instid0(VALU_DEP_1) | instskip(NEXT) | instid1(VALU_DEP_1)
	v_lshrrev_b32_e32 v7, s10, v4
	v_mul_lo_u32 v4, v7, s6
	s_delay_alu instid0(VALU_DEP_1) | instskip(NEXT) | instid1(VALU_DEP_1)
	v_sub_nc_u32_e32 v3, v3, v4
	v_mad_u64_u32 v[4:5], null, v3, s8, v[31:32]
	v_mad_u64_u32 v[5:6], null, v3, s9, v[2:3]
	v_mov_b32_e32 v3, v7
	s_delay_alu instid0(VALU_DEP_2)
	v_dual_mov_b32 v31, v4 :: v_dual_mov_b32 v2, v5
	s_cbranch_scc1 .LBB23_193
.LBB23_194:
	s_and_not1_b32 vcc_lo, exec_lo, s4
	s_cbranch_vccnz .LBB23_197
; %bb.195:
	s_clause 0x1
	s_load_b128 s[0:3], s[14:15], 0x4
	s_load_b64 s[4:5], s[14:15], 0xc4
	s_cmp_lt_u32 s33, 2
	s_waitcnt lgkmcnt(0)
	v_mul_hi_u32 v2, s1, v25
	s_delay_alu instid0(VALU_DEP_1) | instskip(NEXT) | instid1(VALU_DEP_1)
	v_add_nc_u32_e32 v2, v25, v2
	v_lshrrev_b32_e32 v3, s2, v2
	s_delay_alu instid0(VALU_DEP_1) | instskip(NEXT) | instid1(VALU_DEP_1)
	v_mul_lo_u32 v2, v3, s0
	v_sub_nc_u32_e32 v2, v25, v2
	s_delay_alu instid0(VALU_DEP_1)
	v_mul_lo_u32 v31, v2, s4
	v_mul_lo_u32 v2, v2, s5
	s_cbranch_scc1 .LBB23_197
; %bb.196:
	s_clause 0x1
	s_load_b128 s[0:3], s[14:15], 0x10
	s_load_b64 s[4:5], s[14:15], 0xcc
	s_waitcnt lgkmcnt(0)
	v_mul_hi_u32 v4, s1, v3
	s_delay_alu instid0(VALU_DEP_1) | instskip(NEXT) | instid1(VALU_DEP_1)
	v_add_nc_u32_e32 v4, v3, v4
	v_lshrrev_b32_e32 v4, s2, v4
	s_delay_alu instid0(VALU_DEP_1) | instskip(NEXT) | instid1(VALU_DEP_1)
	v_mul_lo_u32 v4, v4, s0
	v_sub_nc_u32_e32 v6, v3, v4
	s_delay_alu instid0(VALU_DEP_1) | instskip(NEXT) | instid1(VALU_DEP_1)
	v_mad_u64_u32 v[3:4], null, v6, s4, v[31:32]
	v_mad_u64_u32 v[4:5], null, v6, s5, v[2:3]
	s_delay_alu instid0(VALU_DEP_1)
	v_dual_mov_b32 v31, v3 :: v_dual_mov_b32 v2, v4
.LBB23_197:
	v_cmp_ne_u32_e32 vcc_lo, 1, v0
	v_add_nc_u32_e32 v3, 0x80, v25
	s_cbranch_vccnz .LBB23_203
; %bb.198:
	v_dual_mov_b32 v30, 0 :: v_dual_mov_b32 v23, 0
	s_cmp_lg_u32 s33, 0
	s_mov_b32 s4, 0
	s_cbranch_scc0 .LBB23_207
; %bb.199:
	s_min_u32 s5, s36, 15
	v_mov_b32_e32 v30, 0
	s_add_i32 s5, s5, 1
	s_cmp_eq_u32 s36, 2
	s_mov_b32 s6, 0
	s_cbranch_scc1 .LBB23_204
; %bb.200:
	v_dual_mov_b32 v23, 0 :: v_dual_mov_b32 v30, 0
	v_mov_b32_e32 v4, v3
	s_add_u32 s0, s14, 0xc4
	s_addc_u32 s1, s15, 0
	s_and_b32 s6, s5, 28
	s_mov_b32 s7, 0
	s_mov_b64 s[2:3], s[14:15]
.LBB23_201:                             ; =>This Inner Loop Header: Depth=1
	s_clause 0x1
	s_load_b256 s[20:27], s[2:3], 0x4
	s_load_b128 s[8:11], s[2:3], 0x24
	s_load_b256 s[40:47], s[0:1], 0x0
	s_add_u32 s2, s2, 48
	s_addc_u32 s3, s3, 0
	s_add_i32 s7, s7, 4
	s_add_u32 s0, s0, 32
	s_addc_u32 s1, s1, 0
	s_cmp_lg_u32 s6, s7
	s_waitcnt lgkmcnt(0)
	v_mul_hi_u32 v5, s21, v4
	s_delay_alu instid0(VALU_DEP_1) | instskip(NEXT) | instid1(VALU_DEP_1)
	v_add_nc_u32_e32 v5, v4, v5
	v_lshrrev_b32_e32 v5, s22, v5
	s_delay_alu instid0(VALU_DEP_1) | instskip(SKIP_1) | instid1(VALU_DEP_2)
	v_mul_hi_u32 v6, s24, v5
	v_mul_lo_u32 v8, v5, s20
	v_add_nc_u32_e32 v6, v5, v6
	s_delay_alu instid0(VALU_DEP_2) | instskip(NEXT) | instid1(VALU_DEP_2)
	v_sub_nc_u32_e32 v4, v4, v8
	v_lshrrev_b32_e32 v6, s25, v6
	s_delay_alu instid0(VALU_DEP_2) | instskip(SKIP_1) | instid1(VALU_DEP_3)
	v_mul_lo_u32 v8, v4, s40
	v_mul_lo_u32 v10, v4, s41
	v_mul_hi_u32 v7, s27, v6
	s_delay_alu instid0(VALU_DEP_1) | instskip(NEXT) | instid1(VALU_DEP_1)
	v_add_nc_u32_e32 v7, v6, v7
	v_lshrrev_b32_e32 v7, s8, v7
	s_delay_alu instid0(VALU_DEP_1) | instskip(SKIP_1) | instid1(VALU_DEP_2)
	v_mul_hi_u32 v9, s10, v7
	v_mul_lo_u32 v11, v7, s26
	v_add_nc_u32_e32 v4, v7, v9
	v_mul_lo_u32 v9, v6, s23
	s_delay_alu instid0(VALU_DEP_3) | instskip(NEXT) | instid1(VALU_DEP_3)
	v_sub_nc_u32_e32 v6, v6, v11
	v_lshrrev_b32_e32 v4, s11, v4
	s_delay_alu instid0(VALU_DEP_2) | instskip(SKIP_2) | instid1(VALU_DEP_4)
	v_mul_lo_u32 v11, v6, s44
	v_mul_lo_u32 v6, v6, s45
	v_sub_nc_u32_e32 v5, v5, v9
	v_mul_lo_u32 v12, v4, s9
	s_delay_alu instid0(VALU_DEP_2) | instskip(SKIP_1) | instid1(VALU_DEP_3)
	v_mul_lo_u32 v9, v5, s42
	v_mul_lo_u32 v5, v5, s43
	v_sub_nc_u32_e32 v7, v7, v12
	s_delay_alu instid0(VALU_DEP_3) | instskip(NEXT) | instid1(VALU_DEP_2)
	v_add3_u32 v8, v8, v30, v9
	v_mul_lo_u32 v12, v7, s46
	v_mul_lo_u32 v7, v7, s47
	v_add3_u32 v5, v10, v23, v5
	s_delay_alu instid0(VALU_DEP_3) | instskip(NEXT) | instid1(VALU_DEP_2)
	v_add3_u32 v30, v11, v8, v12
	v_add3_u32 v23, v6, v5, v7
	s_cbranch_scc1 .LBB23_201
; %bb.202:
	s_and_b32 s5, s5, 3
	s_delay_alu instid0(SALU_CYCLE_1)
	s_cmp_eq_u32 s5, 0
	s_cbranch_scc0 .LBB23_205
	s_branch .LBB23_207
.LBB23_203:
	s_mov_b32 s4, -1
                                        ; implicit-def: $vgpr30
                                        ; implicit-def: $vgpr23
	s_branch .LBB23_207
.LBB23_204:
	v_dual_mov_b32 v4, v3 :: v_dual_mov_b32 v23, 0
	s_and_b32 s5, s5, 3
	s_delay_alu instid0(SALU_CYCLE_1)
	s_cmp_eq_u32 s5, 0
	s_cbranch_scc1 .LBB23_207
.LBB23_205:
	s_lshl_b32 s0, s6, 3
	s_mul_i32 s2, s6, 12
	s_add_u32 s0, s0, s14
	s_addc_u32 s1, 0, s15
	s_add_u32 s0, s0, 0xc4
	s_addc_u32 s1, s1, 0
	;; [unrolled: 2-line block ×3, first 2 shown]
	.p2align	6
.LBB23_206:                             ; =>This Inner Loop Header: Depth=1
	s_clause 0x1
	s_load_b64 s[6:7], s[2:3], 0x4
	s_load_b32 s10, s[2:3], 0xc
	s_load_b64 s[8:9], s[0:1], 0x0
	s_add_u32 s2, s2, 12
	s_addc_u32 s3, s3, 0
	s_add_u32 s0, s0, 8
	s_addc_u32 s1, s1, 0
	s_add_i32 s5, s5, -1
	s_delay_alu instid0(SALU_CYCLE_1) | instskip(SKIP_2) | instid1(VALU_DEP_1)
	s_cmp_lg_u32 s5, 0
	s_waitcnt lgkmcnt(0)
	v_mul_hi_u32 v5, s7, v4
	v_add_nc_u32_e32 v5, v4, v5
	s_delay_alu instid0(VALU_DEP_1) | instskip(NEXT) | instid1(VALU_DEP_1)
	v_lshrrev_b32_e32 v8, s10, v5
	v_mul_lo_u32 v5, v8, s6
	s_delay_alu instid0(VALU_DEP_1) | instskip(NEXT) | instid1(VALU_DEP_1)
	v_sub_nc_u32_e32 v4, v4, v5
	v_mad_u64_u32 v[5:6], null, v4, s8, v[30:31]
	v_mad_u64_u32 v[6:7], null, v4, s9, v[23:24]
	v_mov_b32_e32 v4, v8
	s_delay_alu instid0(VALU_DEP_2)
	v_dual_mov_b32 v30, v5 :: v_dual_mov_b32 v23, v6
	s_cbranch_scc1 .LBB23_206
.LBB23_207:
	s_and_not1_b32 vcc_lo, exec_lo, s4
	s_cbranch_vccnz .LBB23_210
; %bb.208:
	s_clause 0x1
	s_load_b128 s[0:3], s[14:15], 0x4
	s_load_b64 s[4:5], s[14:15], 0xc4
	s_cmp_lt_u32 s33, 2
	s_waitcnt lgkmcnt(0)
	v_mul_hi_u32 v4, s1, v3
	s_delay_alu instid0(VALU_DEP_1) | instskip(NEXT) | instid1(VALU_DEP_1)
	v_add_nc_u32_e32 v4, v3, v4
	v_lshrrev_b32_e32 v4, s2, v4
	s_delay_alu instid0(VALU_DEP_1) | instskip(NEXT) | instid1(VALU_DEP_1)
	v_mul_lo_u32 v5, v4, s0
	v_sub_nc_u32_e32 v3, v3, v5
	s_delay_alu instid0(VALU_DEP_1)
	v_mul_lo_u32 v30, v3, s4
	v_mul_lo_u32 v23, v3, s5
	s_cbranch_scc1 .LBB23_210
; %bb.209:
	s_clause 0x1
	s_load_b128 s[0:3], s[14:15], 0x10
	s_load_b64 s[4:5], s[14:15], 0xcc
	s_waitcnt lgkmcnt(0)
	v_mul_hi_u32 v3, s1, v4
	s_delay_alu instid0(VALU_DEP_1) | instskip(NEXT) | instid1(VALU_DEP_1)
	v_add_nc_u32_e32 v3, v4, v3
	v_lshrrev_b32_e32 v3, s2, v3
	s_delay_alu instid0(VALU_DEP_1) | instskip(NEXT) | instid1(VALU_DEP_1)
	v_mul_lo_u32 v3, v3, s0
	v_sub_nc_u32_e32 v6, v4, v3
	s_delay_alu instid0(VALU_DEP_1) | instskip(SKIP_1) | instid1(VALU_DEP_1)
	v_mad_u64_u32 v[3:4], null, v6, s4, v[30:31]
	v_mad_u64_u32 v[4:5], null, v6, s5, v[23:24]
	v_dual_mov_b32 v30, v3 :: v_dual_mov_b32 v23, v4
.LBB23_210:
	v_cmp_ne_u32_e32 vcc_lo, 1, v0
	v_add_nc_u32_e32 v3, 0x100, v25
	s_cbranch_vccnz .LBB23_216
; %bb.211:
	v_dual_mov_b32 v29, 0 :: v_dual_mov_b32 v26, 0
	s_cmp_lg_u32 s33, 0
	s_mov_b32 s4, 0
	s_cbranch_scc0 .LBB23_220
; %bb.212:
	s_min_u32 s5, s36, 15
	v_mov_b32_e32 v29, 0
	s_add_i32 s5, s5, 1
	s_cmp_eq_u32 s36, 2
	s_mov_b32 s6, 0
	s_cbranch_scc1 .LBB23_217
; %bb.213:
	v_dual_mov_b32 v26, 0 :: v_dual_mov_b32 v29, 0
	v_mov_b32_e32 v4, v3
	s_add_u32 s0, s14, 0xc4
	s_addc_u32 s1, s15, 0
	s_and_b32 s6, s5, 28
	s_mov_b32 s7, 0
	s_mov_b64 s[2:3], s[14:15]
.LBB23_214:                             ; =>This Inner Loop Header: Depth=1
	s_clause 0x1
	s_load_b256 s[20:27], s[2:3], 0x4
	s_load_b128 s[8:11], s[2:3], 0x24
	s_load_b256 s[40:47], s[0:1], 0x0
	s_add_u32 s2, s2, 48
	s_addc_u32 s3, s3, 0
	s_add_i32 s7, s7, 4
	s_add_u32 s0, s0, 32
	s_addc_u32 s1, s1, 0
	s_cmp_lg_u32 s6, s7
	s_waitcnt lgkmcnt(0)
	v_mul_hi_u32 v5, s21, v4
	s_delay_alu instid0(VALU_DEP_1) | instskip(NEXT) | instid1(VALU_DEP_1)
	v_add_nc_u32_e32 v5, v4, v5
	v_lshrrev_b32_e32 v5, s22, v5
	s_delay_alu instid0(VALU_DEP_1) | instskip(SKIP_1) | instid1(VALU_DEP_2)
	v_mul_hi_u32 v6, s24, v5
	v_mul_lo_u32 v8, v5, s20
	v_add_nc_u32_e32 v6, v5, v6
	s_delay_alu instid0(VALU_DEP_2) | instskip(NEXT) | instid1(VALU_DEP_2)
	v_sub_nc_u32_e32 v4, v4, v8
	v_lshrrev_b32_e32 v6, s25, v6
	s_delay_alu instid0(VALU_DEP_2) | instskip(SKIP_1) | instid1(VALU_DEP_3)
	v_mul_lo_u32 v8, v4, s40
	v_mul_lo_u32 v10, v4, s41
	v_mul_hi_u32 v7, s27, v6
	s_delay_alu instid0(VALU_DEP_1) | instskip(NEXT) | instid1(VALU_DEP_1)
	v_add_nc_u32_e32 v7, v6, v7
	v_lshrrev_b32_e32 v7, s8, v7
	s_delay_alu instid0(VALU_DEP_1) | instskip(SKIP_1) | instid1(VALU_DEP_2)
	v_mul_hi_u32 v9, s10, v7
	v_mul_lo_u32 v11, v7, s26
	v_add_nc_u32_e32 v4, v7, v9
	v_mul_lo_u32 v9, v6, s23
	s_delay_alu instid0(VALU_DEP_3) | instskip(NEXT) | instid1(VALU_DEP_3)
	v_sub_nc_u32_e32 v6, v6, v11
	v_lshrrev_b32_e32 v4, s11, v4
	s_delay_alu instid0(VALU_DEP_2) | instskip(SKIP_2) | instid1(VALU_DEP_4)
	v_mul_lo_u32 v11, v6, s44
	v_mul_lo_u32 v6, v6, s45
	v_sub_nc_u32_e32 v5, v5, v9
	v_mul_lo_u32 v12, v4, s9
	s_delay_alu instid0(VALU_DEP_2) | instskip(SKIP_1) | instid1(VALU_DEP_3)
	v_mul_lo_u32 v9, v5, s42
	v_mul_lo_u32 v5, v5, s43
	v_sub_nc_u32_e32 v7, v7, v12
	s_delay_alu instid0(VALU_DEP_3) | instskip(NEXT) | instid1(VALU_DEP_2)
	v_add3_u32 v8, v8, v29, v9
	v_mul_lo_u32 v12, v7, s46
	v_mul_lo_u32 v7, v7, s47
	v_add3_u32 v5, v10, v26, v5
	s_delay_alu instid0(VALU_DEP_3) | instskip(NEXT) | instid1(VALU_DEP_2)
	v_add3_u32 v29, v11, v8, v12
	v_add3_u32 v26, v6, v5, v7
	s_cbranch_scc1 .LBB23_214
; %bb.215:
	s_and_b32 s5, s5, 3
	s_delay_alu instid0(SALU_CYCLE_1)
	s_cmp_eq_u32 s5, 0
	s_cbranch_scc0 .LBB23_218
	s_branch .LBB23_220
.LBB23_216:
	s_mov_b32 s4, -1
                                        ; implicit-def: $vgpr29
                                        ; implicit-def: $vgpr26
	s_branch .LBB23_220
.LBB23_217:
	v_mov_b32_e32 v4, v3
	v_mov_b32_e32 v26, 0
	s_and_b32 s5, s5, 3
	s_delay_alu instid0(SALU_CYCLE_1)
	s_cmp_eq_u32 s5, 0
	s_cbranch_scc1 .LBB23_220
.LBB23_218:
	s_lshl_b32 s0, s6, 3
	s_mul_i32 s2, s6, 12
	s_add_u32 s0, s0, s14
	s_addc_u32 s1, 0, s15
	s_add_u32 s0, s0, 0xc4
	s_addc_u32 s1, s1, 0
	;; [unrolled: 2-line block ×3, first 2 shown]
	.p2align	6
.LBB23_219:                             ; =>This Inner Loop Header: Depth=1
	s_clause 0x1
	s_load_b64 s[6:7], s[2:3], 0x4
	s_load_b32 s10, s[2:3], 0xc
	s_load_b64 s[8:9], s[0:1], 0x0
	s_add_u32 s2, s2, 12
	s_addc_u32 s3, s3, 0
	s_add_u32 s0, s0, 8
	s_addc_u32 s1, s1, 0
	s_add_i32 s5, s5, -1
	s_delay_alu instid0(SALU_CYCLE_1) | instskip(SKIP_2) | instid1(VALU_DEP_1)
	s_cmp_lg_u32 s5, 0
	s_waitcnt lgkmcnt(0)
	v_mul_hi_u32 v5, s7, v4
	v_add_nc_u32_e32 v5, v4, v5
	s_delay_alu instid0(VALU_DEP_1) | instskip(NEXT) | instid1(VALU_DEP_1)
	v_lshrrev_b32_e32 v8, s10, v5
	v_mul_lo_u32 v5, v8, s6
	s_delay_alu instid0(VALU_DEP_1) | instskip(NEXT) | instid1(VALU_DEP_1)
	v_sub_nc_u32_e32 v4, v4, v5
	v_mad_u64_u32 v[5:6], null, v4, s8, v[29:30]
	v_mad_u64_u32 v[6:7], null, v4, s9, v[26:27]
	s_delay_alu instid0(VALU_DEP_2) | instskip(NEXT) | instid1(VALU_DEP_2)
	v_dual_mov_b32 v4, v8 :: v_dual_mov_b32 v29, v5
	v_mov_b32_e32 v26, v6
	s_cbranch_scc1 .LBB23_219
.LBB23_220:
	s_and_not1_b32 vcc_lo, exec_lo, s4
	s_cbranch_vccnz .LBB23_223
; %bb.221:
	s_clause 0x1
	s_load_b128 s[0:3], s[14:15], 0x4
	s_load_b64 s[4:5], s[14:15], 0xc4
	s_cmp_lt_u32 s33, 2
	s_waitcnt lgkmcnt(0)
	v_mul_hi_u32 v4, s1, v3
	s_delay_alu instid0(VALU_DEP_1) | instskip(NEXT) | instid1(VALU_DEP_1)
	v_add_nc_u32_e32 v4, v3, v4
	v_lshrrev_b32_e32 v4, s2, v4
	s_delay_alu instid0(VALU_DEP_1) | instskip(NEXT) | instid1(VALU_DEP_1)
	v_mul_lo_u32 v5, v4, s0
	v_sub_nc_u32_e32 v3, v3, v5
	s_delay_alu instid0(VALU_DEP_1)
	v_mul_lo_u32 v29, v3, s4
	v_mul_lo_u32 v26, v3, s5
	s_cbranch_scc1 .LBB23_223
; %bb.222:
	s_clause 0x1
	s_load_b128 s[0:3], s[14:15], 0x10
	s_load_b64 s[4:5], s[14:15], 0xcc
	s_waitcnt lgkmcnt(0)
	v_mul_hi_u32 v3, s1, v4
	s_delay_alu instid0(VALU_DEP_1) | instskip(NEXT) | instid1(VALU_DEP_1)
	v_add_nc_u32_e32 v3, v4, v3
	v_lshrrev_b32_e32 v3, s2, v3
	s_delay_alu instid0(VALU_DEP_1) | instskip(NEXT) | instid1(VALU_DEP_1)
	v_mul_lo_u32 v3, v3, s0
	v_sub_nc_u32_e32 v6, v4, v3
	s_delay_alu instid0(VALU_DEP_1) | instskip(SKIP_1) | instid1(VALU_DEP_1)
	v_mad_u64_u32 v[3:4], null, v6, s4, v[29:30]
	v_mad_u64_u32 v[4:5], null, v6, s5, v[26:27]
	v_dual_mov_b32 v29, v3 :: v_dual_mov_b32 v26, v4
.LBB23_223:
	v_cmp_ne_u32_e32 vcc_lo, 1, v0
	s_cbranch_vccnz .LBB23_229
; %bb.224:
	v_dual_mov_b32 v28, 0 :: v_dual_mov_b32 v27, 0
	s_cmp_lg_u32 s33, 0
	s_mov_b32 s4, 0
	s_cbranch_scc0 .LBB23_233
; %bb.225:
	s_min_u32 s5, s36, 15
	v_mov_b32_e32 v28, 0
	s_add_i32 s5, s5, 1
	s_cmp_eq_u32 s36, 2
	s_mov_b32 s6, 0
	s_cbranch_scc1 .LBB23_230
; %bb.226:
	v_dual_mov_b32 v27, 0 :: v_dual_mov_b32 v28, 0
	v_mov_b32_e32 v0, v1
	s_add_u32 s0, s14, 0xc4
	s_addc_u32 s1, s15, 0
	s_and_b32 s6, s5, 28
	s_mov_b32 s7, 0
	s_mov_b64 s[2:3], s[14:15]
.LBB23_227:                             ; =>This Inner Loop Header: Depth=1
	s_clause 0x1
	s_load_b256 s[20:27], s[2:3], 0x4
	s_load_b128 s[8:11], s[2:3], 0x24
	s_load_b256 s[36:43], s[0:1], 0x0
	s_add_u32 s2, s2, 48
	s_addc_u32 s3, s3, 0
	s_add_i32 s7, s7, 4
	s_add_u32 s0, s0, 32
	s_addc_u32 s1, s1, 0
	s_cmp_lg_u32 s6, s7
	s_waitcnt lgkmcnt(0)
	v_mul_hi_u32 v3, s21, v0
	s_delay_alu instid0(VALU_DEP_1) | instskip(NEXT) | instid1(VALU_DEP_1)
	v_add_nc_u32_e32 v3, v0, v3
	v_lshrrev_b32_e32 v3, s22, v3
	s_delay_alu instid0(VALU_DEP_1) | instskip(SKIP_1) | instid1(VALU_DEP_2)
	v_mul_hi_u32 v4, s24, v3
	v_mul_lo_u32 v6, v3, s20
	v_add_nc_u32_e32 v4, v3, v4
	s_delay_alu instid0(VALU_DEP_2) | instskip(NEXT) | instid1(VALU_DEP_2)
	v_sub_nc_u32_e32 v0, v0, v6
	v_lshrrev_b32_e32 v4, s25, v4
	s_delay_alu instid0(VALU_DEP_2) | instskip(SKIP_1) | instid1(VALU_DEP_3)
	v_mul_lo_u32 v6, v0, s36
	v_mul_lo_u32 v8, v0, s37
	v_mul_hi_u32 v5, s27, v4
	s_delay_alu instid0(VALU_DEP_1) | instskip(NEXT) | instid1(VALU_DEP_1)
	v_add_nc_u32_e32 v5, v4, v5
	v_lshrrev_b32_e32 v5, s8, v5
	s_delay_alu instid0(VALU_DEP_1) | instskip(SKIP_1) | instid1(VALU_DEP_2)
	v_mul_hi_u32 v7, s10, v5
	v_mul_lo_u32 v9, v5, s26
	v_add_nc_u32_e32 v0, v5, v7
	v_mul_lo_u32 v7, v4, s23
	s_delay_alu instid0(VALU_DEP_3) | instskip(NEXT) | instid1(VALU_DEP_3)
	v_sub_nc_u32_e32 v4, v4, v9
	v_lshrrev_b32_e32 v0, s11, v0
	s_delay_alu instid0(VALU_DEP_2) | instskip(SKIP_2) | instid1(VALU_DEP_4)
	v_mul_lo_u32 v9, v4, s40
	v_mul_lo_u32 v4, v4, s41
	v_sub_nc_u32_e32 v3, v3, v7
	v_mul_lo_u32 v10, v0, s9
	s_delay_alu instid0(VALU_DEP_2) | instskip(SKIP_1) | instid1(VALU_DEP_3)
	v_mul_lo_u32 v7, v3, s38
	v_mul_lo_u32 v3, v3, s39
	v_sub_nc_u32_e32 v5, v5, v10
	s_delay_alu instid0(VALU_DEP_3) | instskip(NEXT) | instid1(VALU_DEP_2)
	v_add3_u32 v6, v6, v28, v7
	v_mul_lo_u32 v10, v5, s42
	v_mul_lo_u32 v5, v5, s43
	v_add3_u32 v3, v8, v27, v3
	s_delay_alu instid0(VALU_DEP_3) | instskip(NEXT) | instid1(VALU_DEP_2)
	v_add3_u32 v28, v9, v6, v10
	v_add3_u32 v27, v4, v3, v5
	s_cbranch_scc1 .LBB23_227
; %bb.228:
	s_and_b32 s5, s5, 3
	s_delay_alu instid0(SALU_CYCLE_1)
	s_cmp_eq_u32 s5, 0
	s_cbranch_scc0 .LBB23_231
	s_branch .LBB23_233
.LBB23_229:
	s_mov_b32 s4, -1
                                        ; implicit-def: $vgpr28
                                        ; implicit-def: $vgpr27
	s_branch .LBB23_233
.LBB23_230:
	v_dual_mov_b32 v0, v1 :: v_dual_mov_b32 v27, 0
	s_and_b32 s5, s5, 3
	s_delay_alu instid0(SALU_CYCLE_1)
	s_cmp_eq_u32 s5, 0
	s_cbranch_scc1 .LBB23_233
.LBB23_231:
	s_lshl_b32 s0, s6, 3
	s_mul_i32 s2, s6, 12
	s_add_u32 s0, s0, s14
	s_addc_u32 s1, 0, s15
	s_add_u32 s0, s0, 0xc4
	s_addc_u32 s1, s1, 0
	;; [unrolled: 2-line block ×3, first 2 shown]
	.p2align	6
.LBB23_232:                             ; =>This Inner Loop Header: Depth=1
	s_clause 0x1
	s_load_b64 s[6:7], s[2:3], 0x4
	s_load_b32 s10, s[2:3], 0xc
	s_load_b64 s[8:9], s[0:1], 0x0
	s_add_u32 s2, s2, 12
	s_addc_u32 s3, s3, 0
	s_add_u32 s0, s0, 8
	s_addc_u32 s1, s1, 0
	s_add_i32 s5, s5, -1
	s_delay_alu instid0(SALU_CYCLE_1) | instskip(SKIP_2) | instid1(VALU_DEP_1)
	s_cmp_lg_u32 s5, 0
	s_waitcnt lgkmcnt(0)
	v_mul_hi_u32 v3, s7, v0
	v_add_nc_u32_e32 v3, v0, v3
	s_delay_alu instid0(VALU_DEP_1) | instskip(NEXT) | instid1(VALU_DEP_1)
	v_lshrrev_b32_e32 v6, s10, v3
	v_mul_lo_u32 v3, v6, s6
	s_delay_alu instid0(VALU_DEP_1) | instskip(NEXT) | instid1(VALU_DEP_1)
	v_sub_nc_u32_e32 v0, v0, v3
	v_mad_u64_u32 v[3:4], null, v0, s8, v[28:29]
	v_mad_u64_u32 v[4:5], null, v0, s9, v[27:28]
	v_mov_b32_e32 v0, v6
	s_delay_alu instid0(VALU_DEP_2)
	v_dual_mov_b32 v28, v3 :: v_dual_mov_b32 v27, v4
	s_cbranch_scc1 .LBB23_232
.LBB23_233:
	s_and_not1_b32 vcc_lo, exec_lo, s4
	s_cbranch_vccnz .LBB23_236
; %bb.234:
	s_clause 0x1
	s_load_b128 s[0:3], s[14:15], 0x4
	s_load_b64 s[4:5], s[14:15], 0xc4
	s_cmp_lt_u32 s33, 2
	s_waitcnt lgkmcnt(0)
	v_mul_hi_u32 v0, s1, v1
	s_delay_alu instid0(VALU_DEP_1) | instskip(NEXT) | instid1(VALU_DEP_1)
	v_add_nc_u32_e32 v0, v1, v0
	v_lshrrev_b32_e32 v0, s2, v0
	s_delay_alu instid0(VALU_DEP_1) | instskip(NEXT) | instid1(VALU_DEP_1)
	v_mul_lo_u32 v3, v0, s0
	v_sub_nc_u32_e32 v1, v1, v3
	s_delay_alu instid0(VALU_DEP_1)
	v_mul_lo_u32 v28, v1, s4
	v_mul_lo_u32 v27, v1, s5
	s_cbranch_scc1 .LBB23_236
; %bb.235:
	s_clause 0x1
	s_load_b128 s[0:3], s[14:15], 0x10
	s_load_b64 s[4:5], s[14:15], 0xcc
	s_waitcnt lgkmcnt(0)
	v_mul_hi_u32 v1, s1, v0
	s_delay_alu instid0(VALU_DEP_1) | instskip(NEXT) | instid1(VALU_DEP_1)
	v_add_nc_u32_e32 v1, v0, v1
	v_lshrrev_b32_e32 v1, s2, v1
	s_delay_alu instid0(VALU_DEP_1) | instskip(NEXT) | instid1(VALU_DEP_1)
	v_mul_lo_u32 v1, v1, s0
	v_sub_nc_u32_e32 v5, v0, v1
	s_delay_alu instid0(VALU_DEP_1) | instskip(SKIP_1) | instid1(VALU_DEP_1)
	v_mad_u64_u32 v[0:1], null, v5, s4, v[28:29]
	v_mad_u64_u32 v[3:4], null, v5, s5, v[27:28]
	v_dual_mov_b32 v28, v0 :: v_dual_mov_b32 v27, v3
.LBB23_236:
	s_clause 0x1
	s_load_b32 s18, s[12:13], 0x160
	s_load_b128 s[12:15], s[14:15], 0x148
	s_getpc_b64 s[20:21]
	s_add_u32 s20, s20, _ZN2at6native6invokeIZZZNS0_12_GLOBAL__N_130modified_bessel_k0_kernel_cudaERNS_18TensorIteratorBaseEENKUlvE_clEvENKUlvE0_clEvEUlfE_j15function_traitsIS7_EEENT1_11result_typeERKT_PrKPcPKT0_PKN3c1010ScalarTypeEi@rel32@lo+4
	s_addc_u32 s21, s21, _ZN2at6native6invokeIZZZNS0_12_GLOBAL__N_130modified_bessel_k0_kernel_cudaERNS_18TensorIteratorBaseEENKUlvE_clEvENKUlvE0_clEvEUlfE_j15function_traitsIS7_EEENT1_11result_typeERKT_PrKPcPKT0_PKN3c1010ScalarTypeEi@rel32@hi+12
	s_waitcnt lgkmcnt(0)
	s_lshr_b32 s19, s18, 16
	v_dual_mov_b32 v0, s14 :: v_dual_mov_b32 v1, s15
	v_mov_b32_e32 v3, s19
	s_swappc_b64 s[30:31], s[20:21]
	s_delay_alu instid0(VALU_DEP_2) | instskip(SKIP_3) | instid1(VALU_DEP_3)
	v_dual_mov_b32 v25, v0 :: v_dual_mov_b32 v0, s14
	v_dual_mov_b32 v1, s15 :: v_dual_mov_b32 v2, v23
	v_mov_b32_e32 v3, s19
	s_swappc_b64 s[30:31], s[20:21]
	v_dual_mov_b32 v24, v0 :: v_dual_mov_b32 v1, s15
	v_dual_mov_b32 v0, s14 :: v_dual_mov_b32 v3, s19
	v_mov_b32_e32 v2, v26
	s_swappc_b64 s[30:31], s[20:21]
	s_delay_alu instid0(VALU_DEP_2)
	v_dual_mov_b32 v23, v0 :: v_dual_mov_b32 v0, s14
	v_dual_mov_b32 v1, s15 :: v_dual_mov_b32 v2, v27
	v_mov_b32_e32 v3, s19
	s_swappc_b64 s[30:31], s[20:21]
	s_lshr_b32 s0, s18, 8
	s_mov_b32 s3, 0
	v_and_b32_e64 v4, 0xff, s0
	v_add_co_u32 v1, s0, s12, v31
	s_delay_alu instid0(VALU_DEP_1) | instskip(NEXT) | instid1(VALU_DEP_3)
	v_add_co_ci_u32_e64 v2, null, s13, 0, s0
	v_cmp_gt_i16_e32 vcc_lo, 11, v4
	s_mov_b32 s0, -1
	s_mov_b32 s1, s16
	s_cbranch_vccnz .LBB23_314
; %bb.237:
	v_cmp_lt_i16_e32 vcc_lo, 25, v4
	s_mov_b32 s1, -1
	s_mov_b32 s2, 0
	s_mov_b32 s0, 0
	s_cbranch_vccz .LBB23_270
; %bb.238:
	v_cmp_lt_i16_e32 vcc_lo, 28, v4
	s_cbranch_vccz .LBB23_253
; %bb.239:
	v_cmp_lt_i16_e32 vcc_lo, 43, v4
	;; [unrolled: 3-line block ×3, first 2 shown]
	s_cbranch_vccz .LBB23_243
; %bb.241:
	v_cmp_eq_u16_e32 vcc_lo, 46, v4
	s_mov_b32 s0, -1
	s_mov_b32 s1, 0
	s_cbranch_vccz .LBB23_243
; %bb.242:
	v_bfe_u32 v3, v25, 16, 1
	v_cmp_o_f32_e32 vcc_lo, v25, v25
	s_mov_b32 s0, 0
	s_mov_b32 s3, -1
	s_delay_alu instid0(VALU_DEP_2) | instskip(NEXT) | instid1(VALU_DEP_1)
	v_add3_u32 v3, v25, v3, 0x7fff
	v_lshrrev_b32_e32 v3, 16, v3
	s_delay_alu instid0(VALU_DEP_1)
	v_cndmask_b32_e32 v3, 0x7fc0, v3, vcc_lo
	global_store_b32 v[1:2], v3, off
.LBB23_243:
	s_and_b32 vcc_lo, exec_lo, s1
	s_cbranch_vccz .LBB23_248
; %bb.244:
	v_cmp_eq_u16_e32 vcc_lo, 44, v4
	s_mov_b32 s0, -1
	s_cbranch_vccz .LBB23_248
; %bb.245:
	v_bfe_u32 v5, v25, 23, 8
	v_mov_b32_e32 v3, 0xff
	s_mov_b32 s1, exec_lo
	s_delay_alu instid0(VALU_DEP_2)
	v_cmpx_ne_u32_e32 0xff, v5
; %bb.246:
	v_and_b32_e32 v3, 0x400000, v25
	v_and_or_b32 v5, 0x3fffff, v25, v5
	s_delay_alu instid0(VALU_DEP_2) | instskip(NEXT) | instid1(VALU_DEP_2)
	v_cmp_ne_u32_e32 vcc_lo, 0, v3
	v_cmp_ne_u32_e64 s0, 0, v5
	v_lshrrev_b32_e32 v3, 23, v25
	s_delay_alu instid0(VALU_DEP_2) | instskip(NEXT) | instid1(SALU_CYCLE_1)
	s_and_b32 s0, vcc_lo, s0
	v_cndmask_b32_e64 v5, 0, 1, s0
	s_delay_alu instid0(VALU_DEP_1)
	v_add_nc_u32_e32 v3, v3, v5
; %bb.247:
	s_or_b32 exec_lo, exec_lo, s1
	s_mov_b32 s0, 0
	s_mov_b32 s3, -1
	global_store_b8 v[1:2], v3, off
.LBB23_248:
	s_mov_b32 s1, 0
.LBB23_249:
	s_delay_alu instid0(SALU_CYCLE_1)
	s_and_b32 vcc_lo, exec_lo, s1
	s_cbranch_vccz .LBB23_252
; %bb.250:
	v_cmp_eq_u16_e32 vcc_lo, 29, v4
	s_mov_b32 s0, -1
	s_cbranch_vccz .LBB23_252
; %bb.251:
	v_trunc_f32_e32 v3, v25
	s_mov_b32 s0, 0
	s_mov_b32 s3, -1
	s_delay_alu instid0(VALU_DEP_1) | instskip(NEXT) | instid1(VALU_DEP_1)
	v_mul_f32_e32 v5, 0x2f800000, v3
	v_floor_f32_e32 v5, v5
	s_delay_alu instid0(VALU_DEP_1) | instskip(SKIP_1) | instid1(VALU_DEP_2)
	v_fmamk_f32 v3, v5, 0xcf800000, v3
	v_cvt_u32_f32_e32 v6, v5
	v_cvt_u32_f32_e32 v5, v3
	global_store_b64 v[1:2], v[5:6], off
.LBB23_252:
	s_mov_b32 s1, 0
.LBB23_253:
	s_delay_alu instid0(SALU_CYCLE_1)
	s_and_b32 vcc_lo, exec_lo, s1
	s_cbranch_vccz .LBB23_269
; %bb.254:
	v_cmp_gt_i16_e32 vcc_lo, 27, v4
	s_mov_b32 s1, -1
	s_cbranch_vccnz .LBB23_260
; %bb.255:
	v_cmp_lt_i16_e32 vcc_lo, 27, v4
	s_cbranch_vccz .LBB23_257
; %bb.256:
	v_cvt_u32_f32_e32 v3, v25
	s_mov_b32 s1, 0
	global_store_b32 v[1:2], v3, off
.LBB23_257:
	s_and_not1_b32 vcc_lo, exec_lo, s1
	s_cbranch_vccnz .LBB23_259
; %bb.258:
	v_cvt_u32_f32_e32 v3, v25
	global_store_b16 v[1:2], v3, off
.LBB23_259:
	s_mov_b32 s1, 0
.LBB23_260:
	s_delay_alu instid0(SALU_CYCLE_1)
	s_and_not1_b32 vcc_lo, exec_lo, s1
	s_cbranch_vccnz .LBB23_268
; %bb.261:
	v_and_b32_e32 v3, 0x7fffffff, v25
	v_mov_b32_e32 v5, 0x80
	s_mov_b32 s1, exec_lo
	s_delay_alu instid0(VALU_DEP_2)
	v_cmpx_gt_u32_e32 0x43800000, v3
	s_cbranch_execz .LBB23_267
; %bb.262:
	v_cmp_lt_u32_e32 vcc_lo, 0x3bffffff, v3
	s_mov_b32 s3, 0
                                        ; implicit-def: $vgpr3
	s_and_saveexec_b32 s4, vcc_lo
	s_delay_alu instid0(SALU_CYCLE_1)
	s_xor_b32 s4, exec_lo, s4
	s_cbranch_execz .LBB23_768
; %bb.263:
	v_bfe_u32 v3, v25, 20, 1
	s_mov_b32 s3, exec_lo
	s_delay_alu instid0(VALU_DEP_1) | instskip(NEXT) | instid1(VALU_DEP_1)
	v_add3_u32 v3, v25, v3, 0x487ffff
	v_lshrrev_b32_e32 v3, 20, v3
	s_or_saveexec_b32 s4, s4
                                        ; implicit-def: $sgpr5
	s_delay_alu instid0(SALU_CYCLE_1)
	s_xor_b32 exec_lo, exec_lo, s4
	s_cbranch_execnz .LBB23_769
.LBB23_264:
	s_or_b32 exec_lo, exec_lo, s4
	v_mov_b32_e32 v5, s5
	s_and_saveexec_b32 s4, s3
.LBB23_265:
	v_lshrrev_b32_e32 v5, 24, v25
	s_delay_alu instid0(VALU_DEP_1)
	v_and_or_b32 v5, 0x80, v5, v3
.LBB23_266:
	s_or_b32 exec_lo, exec_lo, s4
.LBB23_267:
	s_delay_alu instid0(SALU_CYCLE_1)
	s_or_b32 exec_lo, exec_lo, s1
	global_store_b8 v[1:2], v5, off
.LBB23_268:
	s_mov_b32 s3, -1
.LBB23_269:
	s_mov_b32 s1, 0
.LBB23_270:
	s_delay_alu instid0(SALU_CYCLE_1)
	s_and_b32 vcc_lo, exec_lo, s1
	s_cbranch_vccz .LBB23_310
; %bb.271:
	v_cmp_lt_i16_e32 vcc_lo, 22, v4
	s_mov_b32 s1, -1
	s_cbranch_vccz .LBB23_303
; %bb.272:
	v_cmp_gt_i16_e32 vcc_lo, 24, v4
	s_cbranch_vccnz .LBB23_292
; %bb.273:
	v_cmp_lt_i16_e32 vcc_lo, 24, v4
	s_cbranch_vccz .LBB23_281
; %bb.274:
	v_and_b32_e32 v3, 0x7fffffff, v25
	v_mov_b32_e32 v5, 0x80
	s_mov_b32 s1, exec_lo
	s_delay_alu instid0(VALU_DEP_2)
	v_cmpx_gt_u32_e32 0x47800000, v3
	s_cbranch_execz .LBB23_280
; %bb.275:
	v_cmp_lt_u32_e32 vcc_lo, 0x37ffffff, v3
                                        ; implicit-def: $vgpr3
	s_and_saveexec_b32 s3, vcc_lo
	s_delay_alu instid0(SALU_CYCLE_1)
	s_xor_b32 s3, exec_lo, s3
	s_cbranch_execz .LBB23_775
; %bb.276:
	v_bfe_u32 v3, v25, 21, 1
	s_mov_b32 s2, exec_lo
	s_delay_alu instid0(VALU_DEP_1) | instskip(NEXT) | instid1(VALU_DEP_1)
	v_add3_u32 v3, v25, v3, 0x88fffff
	v_lshrrev_b32_e32 v3, 21, v3
	s_or_saveexec_b32 s3, s3
                                        ; implicit-def: $sgpr4
	s_delay_alu instid0(SALU_CYCLE_1)
	s_xor_b32 exec_lo, exec_lo, s3
	s_cbranch_execnz .LBB23_776
.LBB23_277:
	s_or_b32 exec_lo, exec_lo, s3
	v_mov_b32_e32 v5, s4
	s_and_saveexec_b32 s3, s2
.LBB23_278:
	v_lshrrev_b32_e32 v5, 24, v25
	s_delay_alu instid0(VALU_DEP_1)
	v_and_or_b32 v5, 0x80, v5, v3
.LBB23_279:
	s_or_b32 exec_lo, exec_lo, s3
.LBB23_280:
	s_delay_alu instid0(SALU_CYCLE_1)
	s_or_b32 exec_lo, exec_lo, s1
	s_mov_b32 s1, 0
	global_store_b8 v[1:2], v5, off
.LBB23_281:
	s_and_b32 vcc_lo, exec_lo, s1
	s_cbranch_vccz .LBB23_291
; %bb.282:
	v_and_b32_e32 v5, 0x7fffffff, v25
	s_mov_b32 s1, exec_lo
                                        ; implicit-def: $vgpr3
	s_delay_alu instid0(VALU_DEP_1)
	v_cmpx_gt_u32_e32 0x43f00000, v5
	s_xor_b32 s1, exec_lo, s1
	s_cbranch_execz .LBB23_288
; %bb.283:
	s_mov_b32 s2, exec_lo
                                        ; implicit-def: $vgpr3
	v_cmpx_lt_u32_e32 0x3c7fffff, v5
	s_xor_b32 s2, exec_lo, s2
; %bb.284:
	v_bfe_u32 v3, v25, 20, 1
	s_delay_alu instid0(VALU_DEP_1) | instskip(NEXT) | instid1(VALU_DEP_1)
	v_add3_u32 v3, v25, v3, 0x407ffff
	v_and_b32_e32 v5, 0xff00000, v3
	v_lshrrev_b32_e32 v3, 20, v3
	s_delay_alu instid0(VALU_DEP_2) | instskip(NEXT) | instid1(VALU_DEP_2)
	v_cmp_ne_u32_e32 vcc_lo, 0x7f00000, v5
	v_cndmask_b32_e32 v3, 0x7e, v3, vcc_lo
; %bb.285:
	s_and_not1_saveexec_b32 s2, s2
; %bb.286:
	v_add_f32_e64 v3, 0x46800000, |v25|
; %bb.287:
	s_or_b32 exec_lo, exec_lo, s2
                                        ; implicit-def: $vgpr5
.LBB23_288:
	s_and_not1_saveexec_b32 s1, s1
; %bb.289:
	v_mov_b32_e32 v3, 0x7f
	v_cmp_lt_u32_e32 vcc_lo, 0x7f800000, v5
	s_delay_alu instid0(VALU_DEP_2)
	v_cndmask_b32_e32 v3, 0x7e, v3, vcc_lo
; %bb.290:
	s_or_b32 exec_lo, exec_lo, s1
	v_lshrrev_b32_e32 v5, 24, v25
	s_delay_alu instid0(VALU_DEP_1)
	v_and_or_b32 v3, 0x80, v5, v3
	global_store_b8 v[1:2], v3, off
.LBB23_291:
	s_mov_b32 s1, 0
.LBB23_292:
	s_delay_alu instid0(SALU_CYCLE_1)
	s_and_not1_b32 vcc_lo, exec_lo, s1
	s_cbranch_vccnz .LBB23_302
; %bb.293:
	v_and_b32_e32 v5, 0x7fffffff, v25
	s_mov_b32 s1, exec_lo
                                        ; implicit-def: $vgpr3
	s_delay_alu instid0(VALU_DEP_1)
	v_cmpx_gt_u32_e32 0x47800000, v5
	s_xor_b32 s1, exec_lo, s1
	s_cbranch_execz .LBB23_299
; %bb.294:
	s_mov_b32 s2, exec_lo
                                        ; implicit-def: $vgpr3
	v_cmpx_lt_u32_e32 0x387fffff, v5
	s_xor_b32 s2, exec_lo, s2
; %bb.295:
	v_bfe_u32 v3, v25, 21, 1
	s_delay_alu instid0(VALU_DEP_1) | instskip(NEXT) | instid1(VALU_DEP_1)
	v_add3_u32 v3, v25, v3, 0x80fffff
	v_lshrrev_b32_e32 v3, 21, v3
; %bb.296:
	s_and_not1_saveexec_b32 s2, s2
; %bb.297:
	v_add_f32_e64 v3, 0x43000000, |v25|
; %bb.298:
	s_or_b32 exec_lo, exec_lo, s2
                                        ; implicit-def: $vgpr5
.LBB23_299:
	s_and_not1_saveexec_b32 s1, s1
; %bb.300:
	v_mov_b32_e32 v3, 0x7f
	v_cmp_lt_u32_e32 vcc_lo, 0x7f800000, v5
	s_delay_alu instid0(VALU_DEP_2)
	v_cndmask_b32_e32 v3, 0x7c, v3, vcc_lo
; %bb.301:
	s_or_b32 exec_lo, exec_lo, s1
	v_lshrrev_b32_e32 v5, 24, v25
	s_delay_alu instid0(VALU_DEP_1)
	v_and_or_b32 v3, 0x80, v5, v3
	global_store_b8 v[1:2], v3, off
.LBB23_302:
	s_mov_b32 s1, 0
	s_mov_b32 s3, -1
.LBB23_303:
	s_and_not1_b32 vcc_lo, exec_lo, s1
	s_mov_b32 s2, 0
	s_cbranch_vccnz .LBB23_310
; %bb.304:
	v_cmp_lt_i16_e32 vcc_lo, 14, v4
	s_mov_b32 s1, -1
	s_cbranch_vccz .LBB23_308
; %bb.305:
	v_cmp_eq_u16_e32 vcc_lo, 15, v4
	s_mov_b32 s0, -1
	s_cbranch_vccz .LBB23_307
; %bb.306:
	v_bfe_u32 v3, v25, 16, 1
	v_cmp_o_f32_e32 vcc_lo, v25, v25
	s_mov_b32 s0, 0
	s_mov_b32 s3, -1
	s_delay_alu instid0(VALU_DEP_2) | instskip(NEXT) | instid1(VALU_DEP_1)
	v_add3_u32 v3, v25, v3, 0x7fff
	v_lshrrev_b32_e32 v3, 16, v3
	s_delay_alu instid0(VALU_DEP_1)
	v_cndmask_b32_e32 v3, 0x7fc0, v3, vcc_lo
	global_store_b16 v[1:2], v3, off
.LBB23_307:
	s_mov_b32 s1, 0
.LBB23_308:
	s_delay_alu instid0(SALU_CYCLE_1)
	s_and_b32 vcc_lo, exec_lo, s1
	s_cbranch_vccz .LBB23_310
; %bb.309:
	v_cmp_ne_u16_e64 s0, 11, v4
	s_mov_b32 s2, -1
.LBB23_310:
	s_delay_alu instid0(VALU_DEP_1)
	s_and_b32 vcc_lo, exec_lo, s0
	s_mov_b32 s1, s16
	s_cbranch_vccnz .LBB23_770
; %bb.311:
	s_and_not1_b32 vcc_lo, exec_lo, s2
	s_cbranch_vccnz .LBB23_313
.LBB23_312:
	v_cmp_neq_f32_e32 vcc_lo, 0, v25
	s_mov_b32 s3, -1
	v_cndmask_b32_e64 v3, 0, 1, vcc_lo
	global_store_b8 v[1:2], v3, off
.LBB23_313:
	s_mov_b32 s0, 0
.LBB23_314:
	s_delay_alu instid0(SALU_CYCLE_1)
	s_and_b32 vcc_lo, exec_lo, s0
	s_cbranch_vccz .LBB23_353
; %bb.315:
	v_cmp_gt_i16_e32 vcc_lo, 5, v4
	s_mov_b32 s0, -1
	s_cbranch_vccnz .LBB23_336
; %bb.316:
	v_cmp_gt_i16_e32 vcc_lo, 8, v4
	s_cbranch_vccnz .LBB23_326
; %bb.317:
	v_cmp_gt_i16_e32 vcc_lo, 9, v4
	s_cbranch_vccnz .LBB23_323
; %bb.318:
	v_cmp_lt_i16_e32 vcc_lo, 9, v4
	s_cbranch_vccz .LBB23_320
; %bb.319:
	v_cvt_f64_f32_e32 v[5:6], v25
	v_mov_b32_e32 v7, 0
	s_mov_b32 s0, 0
	s_delay_alu instid0(VALU_DEP_1)
	v_mov_b32_e32 v8, v7
	global_store_b128 v[1:2], v[5:8], off
.LBB23_320:
	s_and_not1_b32 vcc_lo, exec_lo, s0
	s_cbranch_vccnz .LBB23_322
; %bb.321:
	v_mov_b32_e32 v26, 0
	global_store_b64 v[1:2], v[25:26], off
.LBB23_322:
	s_mov_b32 s0, 0
.LBB23_323:
	s_delay_alu instid0(SALU_CYCLE_1)
	s_and_not1_b32 vcc_lo, exec_lo, s0
	s_cbranch_vccnz .LBB23_325
; %bb.324:
	v_cvt_f16_f32_e32 v3, v25
	s_delay_alu instid0(VALU_DEP_1)
	v_and_b32_e32 v3, 0xffff, v3
	global_store_b32 v[1:2], v3, off
.LBB23_325:
	s_mov_b32 s0, 0
.LBB23_326:
	s_delay_alu instid0(SALU_CYCLE_1)
	s_and_not1_b32 vcc_lo, exec_lo, s0
	s_cbranch_vccnz .LBB23_335
; %bb.327:
	v_cmp_gt_i16_e32 vcc_lo, 6, v4
	s_mov_b32 s0, -1
	s_cbranch_vccnz .LBB23_333
; %bb.328:
	v_cmp_lt_i16_e32 vcc_lo, 6, v4
	s_cbranch_vccz .LBB23_330
; %bb.329:
	v_cvt_f64_f32_e32 v[5:6], v25
	s_mov_b32 s0, 0
	global_store_b64 v[1:2], v[5:6], off
.LBB23_330:
	s_and_not1_b32 vcc_lo, exec_lo, s0
	s_cbranch_vccnz .LBB23_332
; %bb.331:
	global_store_b32 v[1:2], v25, off
.LBB23_332:
	s_mov_b32 s0, 0
.LBB23_333:
	s_delay_alu instid0(SALU_CYCLE_1)
	s_and_not1_b32 vcc_lo, exec_lo, s0
	s_cbranch_vccnz .LBB23_335
; %bb.334:
	v_cvt_f16_f32_e32 v3, v25
	global_store_b16 v[1:2], v3, off
.LBB23_335:
	s_mov_b32 s0, 0
.LBB23_336:
	s_delay_alu instid0(SALU_CYCLE_1)
	s_and_not1_b32 vcc_lo, exec_lo, s0
	s_cbranch_vccnz .LBB23_352
; %bb.337:
	v_cmp_gt_i16_e32 vcc_lo, 2, v4
	s_mov_b32 s0, -1
	s_cbranch_vccnz .LBB23_347
; %bb.338:
	v_cmp_gt_i16_e32 vcc_lo, 3, v4
	s_cbranch_vccnz .LBB23_344
; %bb.339:
	v_cmp_lt_i16_e32 vcc_lo, 3, v4
	s_cbranch_vccz .LBB23_341
; %bb.340:
	v_trunc_f32_e32 v3, v25
	s_mov_b32 s0, 0
	s_delay_alu instid0(VALU_DEP_1) | instskip(NEXT) | instid1(VALU_DEP_1)
	v_mul_f32_e64 v5, 0x2f800000, |v3|
	v_floor_f32_e32 v5, v5
	s_delay_alu instid0(VALU_DEP_1) | instskip(SKIP_2) | instid1(VALU_DEP_3)
	v_fma_f32 v6, 0xcf800000, v5, |v3|
	v_ashrrev_i32_e32 v3, 31, v3
	v_cvt_u32_f32_e32 v5, v5
	v_cvt_u32_f32_e32 v6, v6
	s_delay_alu instid0(VALU_DEP_2) | instskip(NEXT) | instid1(VALU_DEP_2)
	v_xor_b32_e32 v7, v5, v3
	v_xor_b32_e32 v6, v6, v3
	s_delay_alu instid0(VALU_DEP_1) | instskip(NEXT) | instid1(VALU_DEP_3)
	v_sub_co_u32 v5, vcc_lo, v6, v3
	v_sub_co_ci_u32_e32 v6, vcc_lo, v7, v3, vcc_lo
	global_store_b64 v[1:2], v[5:6], off
.LBB23_341:
	s_and_not1_b32 vcc_lo, exec_lo, s0
	s_cbranch_vccnz .LBB23_343
; %bb.342:
	v_cvt_i32_f32_e32 v3, v25
	global_store_b32 v[1:2], v3, off
.LBB23_343:
	s_mov_b32 s0, 0
.LBB23_344:
	s_delay_alu instid0(SALU_CYCLE_1)
	s_and_not1_b32 vcc_lo, exec_lo, s0
	s_cbranch_vccnz .LBB23_346
; %bb.345:
	v_cvt_i32_f32_e32 v3, v25
	global_store_b16 v[1:2], v3, off
.LBB23_346:
	s_mov_b32 s0, 0
.LBB23_347:
	s_delay_alu instid0(SALU_CYCLE_1)
	s_and_not1_b32 vcc_lo, exec_lo, s0
	s_cbranch_vccnz .LBB23_352
; %bb.348:
	v_cmp_lt_i16_e32 vcc_lo, 0, v4
	s_mov_b32 s0, -1
	s_cbranch_vccz .LBB23_350
; %bb.349:
	v_cvt_i32_f32_e32 v3, v25
	s_mov_b32 s0, 0
	global_store_b8 v[1:2], v3, off
.LBB23_350:
	s_and_not1_b32 vcc_lo, exec_lo, s0
	s_cbranch_vccnz .LBB23_352
; %bb.351:
	v_trunc_f32_e32 v3, v25
	s_delay_alu instid0(VALU_DEP_1) | instskip(NEXT) | instid1(VALU_DEP_1)
	v_mul_f32_e64 v5, 0x2f800000, |v3|
	v_floor_f32_e32 v5, v5
	s_delay_alu instid0(VALU_DEP_1) | instskip(SKIP_1) | instid1(VALU_DEP_2)
	v_fma_f32 v5, 0xcf800000, v5, |v3|
	v_ashrrev_i32_e32 v3, 31, v3
	v_cvt_u32_f32_e32 v5, v5
	s_delay_alu instid0(VALU_DEP_1) | instskip(NEXT) | instid1(VALU_DEP_1)
	v_xor_b32_e32 v5, v5, v3
	v_sub_nc_u32_e32 v3, v5, v3
	global_store_b8 v[1:2], v3, off
.LBB23_352:
	s_mov_b32 s3, -1
.LBB23_353:
	s_delay_alu instid0(SALU_CYCLE_1)
	s_and_not1_b32 vcc_lo, exec_lo, s3
	s_cbranch_vccnz .LBB23_666
; %bb.354:
	v_cmp_gt_i16_e32 vcc_lo, 11, v4
	v_add_co_u32 v1, s0, s12, v30
	s_delay_alu instid0(VALU_DEP_1)
	v_add_co_ci_u32_e64 v2, null, s13, 0, s0
	s_mov_b32 s3, 0
	s_mov_b32 s0, -1
	s_cbranch_vccnz .LBB23_432
; %bb.355:
	v_cmp_lt_i16_e32 vcc_lo, 25, v4
	s_mov_b32 s4, -1
	s_mov_b32 s2, 0
	s_mov_b32 s0, 0
	s_cbranch_vccz .LBB23_388
; %bb.356:
	v_cmp_lt_i16_e32 vcc_lo, 28, v4
	s_cbranch_vccz .LBB23_371
; %bb.357:
	v_cmp_lt_i16_e32 vcc_lo, 43, v4
	;; [unrolled: 3-line block ×3, first 2 shown]
	s_cbranch_vccz .LBB23_361
; %bb.359:
	v_cmp_eq_u16_e32 vcc_lo, 46, v4
	s_mov_b32 s0, -1
	s_mov_b32 s4, 0
	s_cbranch_vccz .LBB23_361
; %bb.360:
	v_bfe_u32 v3, v24, 16, 1
	v_cmp_o_f32_e32 vcc_lo, v24, v24
	s_mov_b32 s0, 0
	s_mov_b32 s3, -1
	s_delay_alu instid0(VALU_DEP_2) | instskip(NEXT) | instid1(VALU_DEP_1)
	v_add3_u32 v3, v24, v3, 0x7fff
	v_lshrrev_b32_e32 v3, 16, v3
	s_delay_alu instid0(VALU_DEP_1)
	v_cndmask_b32_e32 v3, 0x7fc0, v3, vcc_lo
	global_store_b32 v[1:2], v3, off
.LBB23_361:
	s_and_b32 vcc_lo, exec_lo, s4
	s_cbranch_vccz .LBB23_366
; %bb.362:
	v_cmp_eq_u16_e32 vcc_lo, 44, v4
	s_mov_b32 s0, -1
	s_cbranch_vccz .LBB23_366
; %bb.363:
	v_bfe_u32 v5, v24, 23, 8
	v_mov_b32_e32 v3, 0xff
	s_mov_b32 s3, exec_lo
	s_delay_alu instid0(VALU_DEP_2)
	v_cmpx_ne_u32_e32 0xff, v5
; %bb.364:
	v_and_b32_e32 v3, 0x400000, v24
	v_and_or_b32 v5, 0x3fffff, v24, v5
	s_delay_alu instid0(VALU_DEP_2) | instskip(NEXT) | instid1(VALU_DEP_2)
	v_cmp_ne_u32_e32 vcc_lo, 0, v3
	v_cmp_ne_u32_e64 s0, 0, v5
	v_lshrrev_b32_e32 v3, 23, v24
	s_delay_alu instid0(VALU_DEP_2) | instskip(NEXT) | instid1(SALU_CYCLE_1)
	s_and_b32 s0, vcc_lo, s0
	v_cndmask_b32_e64 v5, 0, 1, s0
	s_delay_alu instid0(VALU_DEP_1)
	v_add_nc_u32_e32 v3, v3, v5
; %bb.365:
	s_or_b32 exec_lo, exec_lo, s3
	s_mov_b32 s0, 0
	s_mov_b32 s3, -1
	global_store_b8 v[1:2], v3, off
.LBB23_366:
	s_mov_b32 s4, 0
.LBB23_367:
	s_delay_alu instid0(SALU_CYCLE_1)
	s_and_b32 vcc_lo, exec_lo, s4
	s_cbranch_vccz .LBB23_370
; %bb.368:
	v_cmp_eq_u16_e32 vcc_lo, 29, v4
	s_mov_b32 s0, -1
	s_cbranch_vccz .LBB23_370
; %bb.369:
	v_trunc_f32_e32 v3, v24
	s_mov_b32 s0, 0
	s_mov_b32 s3, -1
	s_delay_alu instid0(VALU_DEP_1) | instskip(NEXT) | instid1(VALU_DEP_1)
	v_mul_f32_e32 v5, 0x2f800000, v3
	v_floor_f32_e32 v5, v5
	s_delay_alu instid0(VALU_DEP_1) | instskip(SKIP_1) | instid1(VALU_DEP_2)
	v_fmamk_f32 v3, v5, 0xcf800000, v3
	v_cvt_u32_f32_e32 v6, v5
	v_cvt_u32_f32_e32 v5, v3
	global_store_b64 v[1:2], v[5:6], off
.LBB23_370:
	s_mov_b32 s4, 0
.LBB23_371:
	s_delay_alu instid0(SALU_CYCLE_1)
	s_and_b32 vcc_lo, exec_lo, s4
	s_cbranch_vccz .LBB23_387
; %bb.372:
	v_cmp_gt_i16_e32 vcc_lo, 27, v4
	s_mov_b32 s3, -1
	s_cbranch_vccnz .LBB23_378
; %bb.373:
	v_cmp_lt_i16_e32 vcc_lo, 27, v4
	v_cvt_u32_f32_e32 v3, v24
	s_cbranch_vccz .LBB23_375
; %bb.374:
	s_mov_b32 s3, 0
	global_store_b32 v[1:2], v3, off
.LBB23_375:
	s_and_not1_b32 vcc_lo, exec_lo, s3
	s_cbranch_vccnz .LBB23_377
; %bb.376:
	global_store_b16 v[1:2], v3, off
.LBB23_377:
	s_mov_b32 s3, 0
.LBB23_378:
	s_delay_alu instid0(SALU_CYCLE_1)
	s_and_not1_b32 vcc_lo, exec_lo, s3
	s_cbranch_vccnz .LBB23_386
; %bb.379:
	v_and_b32_e32 v3, 0x7fffffff, v24
	v_mov_b32_e32 v5, 0x80
	s_mov_b32 s3, exec_lo
	s_delay_alu instid0(VALU_DEP_2)
	v_cmpx_gt_u32_e32 0x43800000, v3
	s_cbranch_execz .LBB23_385
; %bb.380:
	v_cmp_lt_u32_e32 vcc_lo, 0x3bffffff, v3
	s_mov_b32 s4, 0
                                        ; implicit-def: $vgpr3
	s_and_saveexec_b32 s5, vcc_lo
	s_delay_alu instid0(SALU_CYCLE_1)
	s_xor_b32 s5, exec_lo, s5
	s_cbranch_execz .LBB23_777
; %bb.381:
	v_bfe_u32 v3, v24, 20, 1
	s_mov_b32 s4, exec_lo
	s_delay_alu instid0(VALU_DEP_1) | instskip(NEXT) | instid1(VALU_DEP_1)
	v_add3_u32 v3, v24, v3, 0x487ffff
	v_lshrrev_b32_e32 v3, 20, v3
	s_or_saveexec_b32 s5, s5
                                        ; implicit-def: $sgpr6
	s_delay_alu instid0(SALU_CYCLE_1)
	s_xor_b32 exec_lo, exec_lo, s5
	s_cbranch_execnz .LBB23_778
.LBB23_382:
	s_or_b32 exec_lo, exec_lo, s5
	v_mov_b32_e32 v5, s6
	s_and_saveexec_b32 s5, s4
.LBB23_383:
	v_lshrrev_b32_e32 v5, 24, v24
	s_delay_alu instid0(VALU_DEP_1)
	v_and_or_b32 v5, 0x80, v5, v3
.LBB23_384:
	s_or_b32 exec_lo, exec_lo, s5
.LBB23_385:
	s_delay_alu instid0(SALU_CYCLE_1)
	s_or_b32 exec_lo, exec_lo, s3
	global_store_b8 v[1:2], v5, off
.LBB23_386:
	s_mov_b32 s3, -1
.LBB23_387:
	s_mov_b32 s4, 0
.LBB23_388:
	s_delay_alu instid0(SALU_CYCLE_1)
	s_and_b32 vcc_lo, exec_lo, s4
	s_cbranch_vccz .LBB23_428
; %bb.389:
	v_cmp_lt_i16_e32 vcc_lo, 22, v4
	s_mov_b32 s2, -1
	s_cbranch_vccz .LBB23_421
; %bb.390:
	v_cmp_gt_i16_e32 vcc_lo, 24, v4
	s_cbranch_vccnz .LBB23_410
; %bb.391:
	v_cmp_lt_i16_e32 vcc_lo, 24, v4
	s_cbranch_vccz .LBB23_399
; %bb.392:
	v_and_b32_e32 v3, 0x7fffffff, v24
	v_mov_b32_e32 v5, 0x80
	s_mov_b32 s2, exec_lo
	s_delay_alu instid0(VALU_DEP_2)
	v_cmpx_gt_u32_e32 0x47800000, v3
	s_cbranch_execz .LBB23_398
; %bb.393:
	v_cmp_lt_u32_e32 vcc_lo, 0x37ffffff, v3
	s_mov_b32 s3, 0
                                        ; implicit-def: $vgpr3
	s_and_saveexec_b32 s4, vcc_lo
	s_delay_alu instid0(SALU_CYCLE_1)
	s_xor_b32 s4, exec_lo, s4
	s_cbranch_execz .LBB23_925
; %bb.394:
	v_bfe_u32 v3, v24, 21, 1
	s_mov_b32 s3, exec_lo
	s_delay_alu instid0(VALU_DEP_1) | instskip(NEXT) | instid1(VALU_DEP_1)
	v_add3_u32 v3, v24, v3, 0x88fffff
	v_lshrrev_b32_e32 v3, 21, v3
	s_or_saveexec_b32 s4, s4
                                        ; implicit-def: $sgpr5
	s_delay_alu instid0(SALU_CYCLE_1)
	s_xor_b32 exec_lo, exec_lo, s4
	s_cbranch_execnz .LBB23_926
.LBB23_395:
	s_or_b32 exec_lo, exec_lo, s4
	v_mov_b32_e32 v5, s5
	s_and_saveexec_b32 s4, s3
.LBB23_396:
	v_lshrrev_b32_e32 v5, 24, v24
	s_delay_alu instid0(VALU_DEP_1)
	v_and_or_b32 v5, 0x80, v5, v3
.LBB23_397:
	s_or_b32 exec_lo, exec_lo, s4
.LBB23_398:
	s_delay_alu instid0(SALU_CYCLE_1)
	s_or_b32 exec_lo, exec_lo, s2
	s_mov_b32 s2, 0
	global_store_b8 v[1:2], v5, off
.LBB23_399:
	s_and_b32 vcc_lo, exec_lo, s2
	s_cbranch_vccz .LBB23_409
; %bb.400:
	v_and_b32_e32 v5, 0x7fffffff, v24
	s_mov_b32 s2, exec_lo
                                        ; implicit-def: $vgpr3
	s_delay_alu instid0(VALU_DEP_1)
	v_cmpx_gt_u32_e32 0x43f00000, v5
	s_xor_b32 s2, exec_lo, s2
	s_cbranch_execz .LBB23_406
; %bb.401:
	s_mov_b32 s3, exec_lo
                                        ; implicit-def: $vgpr3
	v_cmpx_lt_u32_e32 0x3c7fffff, v5
	s_xor_b32 s3, exec_lo, s3
; %bb.402:
	v_bfe_u32 v3, v24, 20, 1
	s_delay_alu instid0(VALU_DEP_1) | instskip(NEXT) | instid1(VALU_DEP_1)
	v_add3_u32 v3, v24, v3, 0x407ffff
	v_and_b32_e32 v5, 0xff00000, v3
	v_lshrrev_b32_e32 v3, 20, v3
	s_delay_alu instid0(VALU_DEP_2) | instskip(NEXT) | instid1(VALU_DEP_2)
	v_cmp_ne_u32_e32 vcc_lo, 0x7f00000, v5
	v_cndmask_b32_e32 v3, 0x7e, v3, vcc_lo
; %bb.403:
	s_and_not1_saveexec_b32 s3, s3
; %bb.404:
	v_add_f32_e64 v3, 0x46800000, |v24|
; %bb.405:
	s_or_b32 exec_lo, exec_lo, s3
                                        ; implicit-def: $vgpr5
.LBB23_406:
	s_and_not1_saveexec_b32 s2, s2
; %bb.407:
	v_mov_b32_e32 v3, 0x7f
	v_cmp_lt_u32_e32 vcc_lo, 0x7f800000, v5
	s_delay_alu instid0(VALU_DEP_2)
	v_cndmask_b32_e32 v3, 0x7e, v3, vcc_lo
; %bb.408:
	s_or_b32 exec_lo, exec_lo, s2
	v_lshrrev_b32_e32 v5, 24, v24
	s_delay_alu instid0(VALU_DEP_1)
	v_and_or_b32 v3, 0x80, v5, v3
	global_store_b8 v[1:2], v3, off
.LBB23_409:
	s_mov_b32 s2, 0
.LBB23_410:
	s_delay_alu instid0(SALU_CYCLE_1)
	s_and_not1_b32 vcc_lo, exec_lo, s2
	s_cbranch_vccnz .LBB23_420
; %bb.411:
	v_and_b32_e32 v5, 0x7fffffff, v24
	s_mov_b32 s2, exec_lo
                                        ; implicit-def: $vgpr3
	s_delay_alu instid0(VALU_DEP_1)
	v_cmpx_gt_u32_e32 0x47800000, v5
	s_xor_b32 s2, exec_lo, s2
	s_cbranch_execz .LBB23_417
; %bb.412:
	s_mov_b32 s3, exec_lo
                                        ; implicit-def: $vgpr3
	v_cmpx_lt_u32_e32 0x387fffff, v5
	s_xor_b32 s3, exec_lo, s3
; %bb.413:
	v_bfe_u32 v3, v24, 21, 1
	s_delay_alu instid0(VALU_DEP_1) | instskip(NEXT) | instid1(VALU_DEP_1)
	v_add3_u32 v3, v24, v3, 0x80fffff
	v_lshrrev_b32_e32 v3, 21, v3
; %bb.414:
	s_and_not1_saveexec_b32 s3, s3
; %bb.415:
	v_add_f32_e64 v3, 0x43000000, |v24|
; %bb.416:
	s_or_b32 exec_lo, exec_lo, s3
                                        ; implicit-def: $vgpr5
.LBB23_417:
	s_and_not1_saveexec_b32 s2, s2
; %bb.418:
	v_mov_b32_e32 v3, 0x7f
	v_cmp_lt_u32_e32 vcc_lo, 0x7f800000, v5
	s_delay_alu instid0(VALU_DEP_2)
	v_cndmask_b32_e32 v3, 0x7c, v3, vcc_lo
; %bb.419:
	s_or_b32 exec_lo, exec_lo, s2
	v_lshrrev_b32_e32 v5, 24, v24
	s_delay_alu instid0(VALU_DEP_1)
	v_and_or_b32 v3, 0x80, v5, v3
	global_store_b8 v[1:2], v3, off
.LBB23_420:
	s_mov_b32 s2, 0
	s_mov_b32 s3, -1
.LBB23_421:
	s_and_not1_b32 vcc_lo, exec_lo, s2
	s_mov_b32 s2, 0
	s_cbranch_vccnz .LBB23_428
; %bb.422:
	v_cmp_lt_i16_e32 vcc_lo, 14, v4
	s_mov_b32 s2, -1
	s_cbranch_vccz .LBB23_426
; %bb.423:
	v_cmp_eq_u16_e32 vcc_lo, 15, v4
	s_mov_b32 s0, -1
	s_cbranch_vccz .LBB23_425
; %bb.424:
	v_bfe_u32 v3, v24, 16, 1
	v_cmp_o_f32_e32 vcc_lo, v24, v24
	s_mov_b32 s0, 0
	s_mov_b32 s3, -1
	s_delay_alu instid0(VALU_DEP_2) | instskip(NEXT) | instid1(VALU_DEP_1)
	v_add3_u32 v3, v24, v3, 0x7fff
	v_lshrrev_b32_e32 v3, 16, v3
	s_delay_alu instid0(VALU_DEP_1)
	v_cndmask_b32_e32 v3, 0x7fc0, v3, vcc_lo
	global_store_b16 v[1:2], v3, off
.LBB23_425:
	s_mov_b32 s2, 0
.LBB23_426:
	s_delay_alu instid0(SALU_CYCLE_1)
	s_and_b32 vcc_lo, exec_lo, s2
	s_mov_b32 s2, 0
	s_cbranch_vccz .LBB23_428
; %bb.427:
	v_cmp_ne_u16_e64 s0, 11, v4
	s_mov_b32 s2, -1
.LBB23_428:
	s_delay_alu instid0(VALU_DEP_1)
	s_and_b32 vcc_lo, exec_lo, s0
	s_cbranch_vccnz .LBB23_781
; %bb.429:
	s_and_not1_b32 vcc_lo, exec_lo, s2
	s_cbranch_vccnz .LBB23_431
.LBB23_430:
	v_cmp_neq_f32_e32 vcc_lo, 0, v24
	s_mov_b32 s3, -1
	v_cndmask_b32_e64 v3, 0, 1, vcc_lo
	global_store_b8 v[1:2], v3, off
.LBB23_431:
	s_mov_b32 s0, 0
.LBB23_432:
	s_delay_alu instid0(SALU_CYCLE_1)
	s_and_b32 vcc_lo, exec_lo, s0
	s_cbranch_vccz .LBB23_471
; %bb.433:
	v_cmp_gt_i16_e32 vcc_lo, 5, v4
	s_mov_b32 s0, -1
	s_cbranch_vccnz .LBB23_454
; %bb.434:
	v_cmp_gt_i16_e32 vcc_lo, 8, v4
	s_cbranch_vccnz .LBB23_444
; %bb.435:
	v_cmp_gt_i16_e32 vcc_lo, 9, v4
	s_cbranch_vccnz .LBB23_441
; %bb.436:
	v_cmp_lt_i16_e32 vcc_lo, 9, v4
	s_cbranch_vccz .LBB23_438
; %bb.437:
	v_cvt_f64_f32_e32 v[5:6], v24
	v_mov_b32_e32 v7, 0
	s_mov_b32 s0, 0
	s_delay_alu instid0(VALU_DEP_1)
	v_mov_b32_e32 v8, v7
	global_store_b128 v[1:2], v[5:8], off
.LBB23_438:
	s_and_not1_b32 vcc_lo, exec_lo, s0
	s_cbranch_vccnz .LBB23_440
; %bb.439:
	v_mov_b32_e32 v25, 0
	global_store_b64 v[1:2], v[24:25], off
.LBB23_440:
	s_mov_b32 s0, 0
.LBB23_441:
	s_delay_alu instid0(SALU_CYCLE_1)
	s_and_not1_b32 vcc_lo, exec_lo, s0
	s_cbranch_vccnz .LBB23_443
; %bb.442:
	v_cvt_f16_f32_e32 v3, v24
	s_delay_alu instid0(VALU_DEP_1)
	v_and_b32_e32 v3, 0xffff, v3
	global_store_b32 v[1:2], v3, off
.LBB23_443:
	s_mov_b32 s0, 0
.LBB23_444:
	s_delay_alu instid0(SALU_CYCLE_1)
	s_and_not1_b32 vcc_lo, exec_lo, s0
	s_cbranch_vccnz .LBB23_453
; %bb.445:
	v_cmp_gt_i16_e32 vcc_lo, 6, v4
	s_mov_b32 s0, -1
	s_cbranch_vccnz .LBB23_451
; %bb.446:
	v_cmp_lt_i16_e32 vcc_lo, 6, v4
	s_cbranch_vccz .LBB23_448
; %bb.447:
	v_cvt_f64_f32_e32 v[5:6], v24
	s_mov_b32 s0, 0
	global_store_b64 v[1:2], v[5:6], off
.LBB23_448:
	s_and_not1_b32 vcc_lo, exec_lo, s0
	s_cbranch_vccnz .LBB23_450
; %bb.449:
	global_store_b32 v[1:2], v24, off
.LBB23_450:
	s_mov_b32 s0, 0
.LBB23_451:
	s_delay_alu instid0(SALU_CYCLE_1)
	s_and_not1_b32 vcc_lo, exec_lo, s0
	s_cbranch_vccnz .LBB23_453
; %bb.452:
	v_cvt_f16_f32_e32 v3, v24
	global_store_b16 v[1:2], v3, off
.LBB23_453:
	s_mov_b32 s0, 0
.LBB23_454:
	s_delay_alu instid0(SALU_CYCLE_1)
	s_and_not1_b32 vcc_lo, exec_lo, s0
	s_cbranch_vccnz .LBB23_470
; %bb.455:
	v_cmp_gt_i16_e32 vcc_lo, 2, v4
	s_mov_b32 s0, -1
	s_cbranch_vccnz .LBB23_465
; %bb.456:
	v_cmp_gt_i16_e32 vcc_lo, 3, v4
	s_cbranch_vccnz .LBB23_462
; %bb.457:
	v_cmp_lt_i16_e32 vcc_lo, 3, v4
	s_cbranch_vccz .LBB23_459
; %bb.458:
	v_trunc_f32_e32 v3, v24
	s_mov_b32 s0, 0
	s_delay_alu instid0(VALU_DEP_1) | instskip(NEXT) | instid1(VALU_DEP_1)
	v_mul_f32_e64 v5, 0x2f800000, |v3|
	v_floor_f32_e32 v5, v5
	s_delay_alu instid0(VALU_DEP_1) | instskip(SKIP_2) | instid1(VALU_DEP_3)
	v_fma_f32 v6, 0xcf800000, v5, |v3|
	v_ashrrev_i32_e32 v3, 31, v3
	v_cvt_u32_f32_e32 v5, v5
	v_cvt_u32_f32_e32 v6, v6
	s_delay_alu instid0(VALU_DEP_2) | instskip(NEXT) | instid1(VALU_DEP_2)
	v_xor_b32_e32 v7, v5, v3
	v_xor_b32_e32 v6, v6, v3
	s_delay_alu instid0(VALU_DEP_1) | instskip(NEXT) | instid1(VALU_DEP_3)
	v_sub_co_u32 v5, vcc_lo, v6, v3
	v_sub_co_ci_u32_e32 v6, vcc_lo, v7, v3, vcc_lo
	global_store_b64 v[1:2], v[5:6], off
.LBB23_459:
	s_and_not1_b32 vcc_lo, exec_lo, s0
	s_cbranch_vccnz .LBB23_461
; %bb.460:
	v_cvt_i32_f32_e32 v3, v24
	global_store_b32 v[1:2], v3, off
.LBB23_461:
	s_mov_b32 s0, 0
.LBB23_462:
	s_delay_alu instid0(SALU_CYCLE_1)
	s_and_not1_b32 vcc_lo, exec_lo, s0
	s_cbranch_vccnz .LBB23_464
; %bb.463:
	v_cvt_i32_f32_e32 v3, v24
	global_store_b16 v[1:2], v3, off
.LBB23_464:
	s_mov_b32 s0, 0
.LBB23_465:
	s_delay_alu instid0(SALU_CYCLE_1)
	s_and_not1_b32 vcc_lo, exec_lo, s0
	s_cbranch_vccnz .LBB23_470
; %bb.466:
	v_cmp_lt_i16_e32 vcc_lo, 0, v4
	s_mov_b32 s0, -1
	s_cbranch_vccz .LBB23_468
; %bb.467:
	v_cvt_i32_f32_e32 v3, v24
	s_mov_b32 s0, 0
	global_store_b8 v[1:2], v3, off
.LBB23_468:
	s_and_not1_b32 vcc_lo, exec_lo, s0
	s_cbranch_vccnz .LBB23_470
; %bb.469:
	v_trunc_f32_e32 v3, v24
	s_delay_alu instid0(VALU_DEP_1) | instskip(NEXT) | instid1(VALU_DEP_1)
	v_mul_f32_e64 v5, 0x2f800000, |v3|
	v_floor_f32_e32 v5, v5
	s_delay_alu instid0(VALU_DEP_1) | instskip(SKIP_1) | instid1(VALU_DEP_2)
	v_fma_f32 v5, 0xcf800000, v5, |v3|
	v_ashrrev_i32_e32 v3, 31, v3
	v_cvt_u32_f32_e32 v5, v5
	s_delay_alu instid0(VALU_DEP_1) | instskip(NEXT) | instid1(VALU_DEP_1)
	v_xor_b32_e32 v5, v5, v3
	v_sub_nc_u32_e32 v3, v5, v3
	global_store_b8 v[1:2], v3, off
.LBB23_470:
	s_mov_b32 s3, -1
.LBB23_471:
	s_delay_alu instid0(SALU_CYCLE_1)
	s_and_not1_b32 vcc_lo, exec_lo, s3
	s_cbranch_vccnz .LBB23_666
; %bb.472:
	v_cmp_gt_i16_e32 vcc_lo, 11, v4
	v_add_co_u32 v1, s0, s12, v29
	s_delay_alu instid0(VALU_DEP_1)
	v_add_co_ci_u32_e64 v2, null, s13, 0, s0
	s_mov_b32 s3, 0
	s_mov_b32 s0, -1
	s_cbranch_vccnz .LBB23_550
; %bb.473:
	v_cmp_lt_i16_e32 vcc_lo, 25, v4
	s_mov_b32 s4, -1
	s_mov_b32 s2, 0
	s_mov_b32 s0, 0
	s_cbranch_vccz .LBB23_506
; %bb.474:
	v_cmp_lt_i16_e32 vcc_lo, 28, v4
	s_cbranch_vccz .LBB23_489
; %bb.475:
	v_cmp_lt_i16_e32 vcc_lo, 43, v4
	;; [unrolled: 3-line block ×3, first 2 shown]
	s_cbranch_vccz .LBB23_479
; %bb.477:
	v_cmp_eq_u16_e32 vcc_lo, 46, v4
	s_mov_b32 s0, -1
	s_mov_b32 s4, 0
	s_cbranch_vccz .LBB23_479
; %bb.478:
	v_bfe_u32 v3, v23, 16, 1
	v_cmp_o_f32_e32 vcc_lo, v23, v23
	s_mov_b32 s0, 0
	s_mov_b32 s3, -1
	s_delay_alu instid0(VALU_DEP_2) | instskip(NEXT) | instid1(VALU_DEP_1)
	v_add3_u32 v3, v23, v3, 0x7fff
	v_lshrrev_b32_e32 v3, 16, v3
	s_delay_alu instid0(VALU_DEP_1)
	v_cndmask_b32_e32 v3, 0x7fc0, v3, vcc_lo
	global_store_b32 v[1:2], v3, off
.LBB23_479:
	s_and_b32 vcc_lo, exec_lo, s4
	s_cbranch_vccz .LBB23_484
; %bb.480:
	v_cmp_eq_u16_e32 vcc_lo, 44, v4
	s_mov_b32 s0, -1
	s_cbranch_vccz .LBB23_484
; %bb.481:
	v_bfe_u32 v5, v23, 23, 8
	v_mov_b32_e32 v3, 0xff
	s_mov_b32 s3, exec_lo
	s_delay_alu instid0(VALU_DEP_2)
	v_cmpx_ne_u32_e32 0xff, v5
; %bb.482:
	v_and_b32_e32 v3, 0x400000, v23
	v_and_or_b32 v5, 0x3fffff, v23, v5
	s_delay_alu instid0(VALU_DEP_2) | instskip(NEXT) | instid1(VALU_DEP_2)
	v_cmp_ne_u32_e32 vcc_lo, 0, v3
	v_cmp_ne_u32_e64 s0, 0, v5
	v_lshrrev_b32_e32 v3, 23, v23
	s_delay_alu instid0(VALU_DEP_2) | instskip(NEXT) | instid1(SALU_CYCLE_1)
	s_and_b32 s0, vcc_lo, s0
	v_cndmask_b32_e64 v5, 0, 1, s0
	s_delay_alu instid0(VALU_DEP_1)
	v_add_nc_u32_e32 v3, v3, v5
; %bb.483:
	s_or_b32 exec_lo, exec_lo, s3
	s_mov_b32 s0, 0
	s_mov_b32 s3, -1
	global_store_b8 v[1:2], v3, off
.LBB23_484:
	s_mov_b32 s4, 0
.LBB23_485:
	s_delay_alu instid0(SALU_CYCLE_1)
	s_and_b32 vcc_lo, exec_lo, s4
	s_cbranch_vccz .LBB23_488
; %bb.486:
	v_cmp_eq_u16_e32 vcc_lo, 29, v4
	s_mov_b32 s0, -1
	s_cbranch_vccz .LBB23_488
; %bb.487:
	v_trunc_f32_e32 v3, v23
	s_mov_b32 s0, 0
	s_mov_b32 s3, -1
	s_delay_alu instid0(VALU_DEP_1) | instskip(NEXT) | instid1(VALU_DEP_1)
	v_mul_f32_e32 v5, 0x2f800000, v3
	v_floor_f32_e32 v5, v5
	s_delay_alu instid0(VALU_DEP_1) | instskip(SKIP_1) | instid1(VALU_DEP_2)
	v_fmamk_f32 v3, v5, 0xcf800000, v3
	v_cvt_u32_f32_e32 v6, v5
	v_cvt_u32_f32_e32 v5, v3
	global_store_b64 v[1:2], v[5:6], off
.LBB23_488:
	s_mov_b32 s4, 0
.LBB23_489:
	s_delay_alu instid0(SALU_CYCLE_1)
	s_and_b32 vcc_lo, exec_lo, s4
	s_cbranch_vccz .LBB23_505
; %bb.490:
	v_cmp_gt_i16_e32 vcc_lo, 27, v4
	s_mov_b32 s3, -1
	s_cbranch_vccnz .LBB23_496
; %bb.491:
	v_cmp_lt_i16_e32 vcc_lo, 27, v4
	v_cvt_u32_f32_e32 v3, v23
	s_cbranch_vccz .LBB23_493
; %bb.492:
	s_mov_b32 s3, 0
	global_store_b32 v[1:2], v3, off
.LBB23_493:
	s_and_not1_b32 vcc_lo, exec_lo, s3
	s_cbranch_vccnz .LBB23_495
; %bb.494:
	global_store_b16 v[1:2], v3, off
.LBB23_495:
	s_mov_b32 s3, 0
.LBB23_496:
	s_delay_alu instid0(SALU_CYCLE_1)
	s_and_not1_b32 vcc_lo, exec_lo, s3
	s_cbranch_vccnz .LBB23_504
; %bb.497:
	v_and_b32_e32 v3, 0x7fffffff, v23
	v_mov_b32_e32 v5, 0x80
	s_mov_b32 s3, exec_lo
	s_delay_alu instid0(VALU_DEP_2)
	v_cmpx_gt_u32_e32 0x43800000, v3
	s_cbranch_execz .LBB23_503
; %bb.498:
	v_cmp_lt_u32_e32 vcc_lo, 0x3bffffff, v3
	s_mov_b32 s4, 0
                                        ; implicit-def: $vgpr3
	s_and_saveexec_b32 s5, vcc_lo
	s_delay_alu instid0(SALU_CYCLE_1)
	s_xor_b32 s5, exec_lo, s5
	s_cbranch_execz .LBB23_927
; %bb.499:
	v_bfe_u32 v3, v23, 20, 1
	s_mov_b32 s4, exec_lo
	s_delay_alu instid0(VALU_DEP_1) | instskip(NEXT) | instid1(VALU_DEP_1)
	v_add3_u32 v3, v23, v3, 0x487ffff
	v_lshrrev_b32_e32 v3, 20, v3
	s_or_saveexec_b32 s5, s5
                                        ; implicit-def: $sgpr6
	s_delay_alu instid0(SALU_CYCLE_1)
	s_xor_b32 exec_lo, exec_lo, s5
	s_cbranch_execnz .LBB23_928
.LBB23_500:
	s_or_b32 exec_lo, exec_lo, s5
	v_mov_b32_e32 v5, s6
	s_and_saveexec_b32 s5, s4
.LBB23_501:
	v_lshrrev_b32_e32 v5, 24, v23
	s_delay_alu instid0(VALU_DEP_1)
	v_and_or_b32 v5, 0x80, v5, v3
.LBB23_502:
	s_or_b32 exec_lo, exec_lo, s5
.LBB23_503:
	s_delay_alu instid0(SALU_CYCLE_1)
	s_or_b32 exec_lo, exec_lo, s3
	global_store_b8 v[1:2], v5, off
.LBB23_504:
	s_mov_b32 s3, -1
.LBB23_505:
	s_mov_b32 s4, 0
.LBB23_506:
	s_delay_alu instid0(SALU_CYCLE_1)
	s_and_b32 vcc_lo, exec_lo, s4
	s_cbranch_vccz .LBB23_546
; %bb.507:
	v_cmp_lt_i16_e32 vcc_lo, 22, v4
	s_mov_b32 s2, -1
	s_cbranch_vccz .LBB23_539
; %bb.508:
	v_cmp_gt_i16_e32 vcc_lo, 24, v4
	s_cbranch_vccnz .LBB23_528
; %bb.509:
	v_cmp_lt_i16_e32 vcc_lo, 24, v4
	s_cbranch_vccz .LBB23_517
; %bb.510:
	v_and_b32_e32 v3, 0x7fffffff, v23
	v_mov_b32_e32 v5, 0x80
	s_mov_b32 s2, exec_lo
	s_delay_alu instid0(VALU_DEP_2)
	v_cmpx_gt_u32_e32 0x47800000, v3
	s_cbranch_execz .LBB23_516
; %bb.511:
	v_cmp_lt_u32_e32 vcc_lo, 0x37ffffff, v3
	s_mov_b32 s3, 0
                                        ; implicit-def: $vgpr3
	s_and_saveexec_b32 s4, vcc_lo
	s_delay_alu instid0(SALU_CYCLE_1)
	s_xor_b32 s4, exec_lo, s4
	s_cbranch_execz .LBB23_1108
; %bb.512:
	v_bfe_u32 v3, v23, 21, 1
	s_mov_b32 s3, exec_lo
	s_delay_alu instid0(VALU_DEP_1) | instskip(NEXT) | instid1(VALU_DEP_1)
	v_add3_u32 v3, v23, v3, 0x88fffff
	v_lshrrev_b32_e32 v3, 21, v3
	s_or_saveexec_b32 s4, s4
                                        ; implicit-def: $sgpr5
	s_delay_alu instid0(SALU_CYCLE_1)
	s_xor_b32 exec_lo, exec_lo, s4
	s_cbranch_execnz .LBB23_1109
.LBB23_513:
	s_or_b32 exec_lo, exec_lo, s4
	v_mov_b32_e32 v5, s5
	s_and_saveexec_b32 s4, s3
.LBB23_514:
	v_lshrrev_b32_e32 v5, 24, v23
	s_delay_alu instid0(VALU_DEP_1)
	v_and_or_b32 v5, 0x80, v5, v3
.LBB23_515:
	s_or_b32 exec_lo, exec_lo, s4
.LBB23_516:
	s_delay_alu instid0(SALU_CYCLE_1)
	s_or_b32 exec_lo, exec_lo, s2
	s_mov_b32 s2, 0
	global_store_b8 v[1:2], v5, off
.LBB23_517:
	s_and_b32 vcc_lo, exec_lo, s2
	s_cbranch_vccz .LBB23_527
; %bb.518:
	v_and_b32_e32 v5, 0x7fffffff, v23
	s_mov_b32 s2, exec_lo
                                        ; implicit-def: $vgpr3
	s_delay_alu instid0(VALU_DEP_1)
	v_cmpx_gt_u32_e32 0x43f00000, v5
	s_xor_b32 s2, exec_lo, s2
	s_cbranch_execz .LBB23_524
; %bb.519:
	s_mov_b32 s3, exec_lo
                                        ; implicit-def: $vgpr3
	v_cmpx_lt_u32_e32 0x3c7fffff, v5
	s_xor_b32 s3, exec_lo, s3
; %bb.520:
	v_bfe_u32 v3, v23, 20, 1
	s_delay_alu instid0(VALU_DEP_1) | instskip(NEXT) | instid1(VALU_DEP_1)
	v_add3_u32 v3, v23, v3, 0x407ffff
	v_and_b32_e32 v5, 0xff00000, v3
	v_lshrrev_b32_e32 v3, 20, v3
	s_delay_alu instid0(VALU_DEP_2) | instskip(NEXT) | instid1(VALU_DEP_2)
	v_cmp_ne_u32_e32 vcc_lo, 0x7f00000, v5
	v_cndmask_b32_e32 v3, 0x7e, v3, vcc_lo
; %bb.521:
	s_and_not1_saveexec_b32 s3, s3
; %bb.522:
	v_add_f32_e64 v3, 0x46800000, |v23|
; %bb.523:
	s_or_b32 exec_lo, exec_lo, s3
                                        ; implicit-def: $vgpr5
.LBB23_524:
	s_and_not1_saveexec_b32 s2, s2
; %bb.525:
	v_mov_b32_e32 v3, 0x7f
	v_cmp_lt_u32_e32 vcc_lo, 0x7f800000, v5
	s_delay_alu instid0(VALU_DEP_2)
	v_cndmask_b32_e32 v3, 0x7e, v3, vcc_lo
; %bb.526:
	s_or_b32 exec_lo, exec_lo, s2
	v_lshrrev_b32_e32 v5, 24, v23
	s_delay_alu instid0(VALU_DEP_1)
	v_and_or_b32 v3, 0x80, v5, v3
	global_store_b8 v[1:2], v3, off
.LBB23_527:
	s_mov_b32 s2, 0
.LBB23_528:
	s_delay_alu instid0(SALU_CYCLE_1)
	s_and_not1_b32 vcc_lo, exec_lo, s2
	s_cbranch_vccnz .LBB23_538
; %bb.529:
	v_and_b32_e32 v5, 0x7fffffff, v23
	s_mov_b32 s2, exec_lo
                                        ; implicit-def: $vgpr3
	s_delay_alu instid0(VALU_DEP_1)
	v_cmpx_gt_u32_e32 0x47800000, v5
	s_xor_b32 s2, exec_lo, s2
	s_cbranch_execz .LBB23_535
; %bb.530:
	s_mov_b32 s3, exec_lo
                                        ; implicit-def: $vgpr3
	v_cmpx_lt_u32_e32 0x387fffff, v5
	s_xor_b32 s3, exec_lo, s3
; %bb.531:
	v_bfe_u32 v3, v23, 21, 1
	s_delay_alu instid0(VALU_DEP_1) | instskip(NEXT) | instid1(VALU_DEP_1)
	v_add3_u32 v3, v23, v3, 0x80fffff
	v_lshrrev_b32_e32 v3, 21, v3
; %bb.532:
	s_and_not1_saveexec_b32 s3, s3
; %bb.533:
	v_add_f32_e64 v3, 0x43000000, |v23|
; %bb.534:
	s_or_b32 exec_lo, exec_lo, s3
                                        ; implicit-def: $vgpr5
.LBB23_535:
	s_and_not1_saveexec_b32 s2, s2
; %bb.536:
	v_mov_b32_e32 v3, 0x7f
	v_cmp_lt_u32_e32 vcc_lo, 0x7f800000, v5
	s_delay_alu instid0(VALU_DEP_2)
	v_cndmask_b32_e32 v3, 0x7c, v3, vcc_lo
; %bb.537:
	s_or_b32 exec_lo, exec_lo, s2
	v_lshrrev_b32_e32 v5, 24, v23
	s_delay_alu instid0(VALU_DEP_1)
	v_and_or_b32 v3, 0x80, v5, v3
	global_store_b8 v[1:2], v3, off
.LBB23_538:
	s_mov_b32 s2, 0
	s_mov_b32 s3, -1
.LBB23_539:
	s_and_not1_b32 vcc_lo, exec_lo, s2
	s_mov_b32 s2, 0
	s_cbranch_vccnz .LBB23_546
; %bb.540:
	v_cmp_lt_i16_e32 vcc_lo, 14, v4
	s_mov_b32 s2, -1
	s_cbranch_vccz .LBB23_544
; %bb.541:
	v_cmp_eq_u16_e32 vcc_lo, 15, v4
	s_mov_b32 s0, -1
	s_cbranch_vccz .LBB23_543
; %bb.542:
	v_bfe_u32 v3, v23, 16, 1
	v_cmp_o_f32_e32 vcc_lo, v23, v23
	s_mov_b32 s0, 0
	s_mov_b32 s3, -1
	s_delay_alu instid0(VALU_DEP_2) | instskip(NEXT) | instid1(VALU_DEP_1)
	v_add3_u32 v3, v23, v3, 0x7fff
	v_lshrrev_b32_e32 v3, 16, v3
	s_delay_alu instid0(VALU_DEP_1)
	v_cndmask_b32_e32 v3, 0x7fc0, v3, vcc_lo
	global_store_b16 v[1:2], v3, off
.LBB23_543:
	s_mov_b32 s2, 0
.LBB23_544:
	s_delay_alu instid0(SALU_CYCLE_1)
	s_and_b32 vcc_lo, exec_lo, s2
	s_mov_b32 s2, 0
	s_cbranch_vccz .LBB23_546
; %bb.545:
	v_cmp_ne_u16_e64 s0, 11, v4
	s_mov_b32 s2, -1
.LBB23_546:
	s_delay_alu instid0(VALU_DEP_1)
	s_and_b32 vcc_lo, exec_lo, s0
	s_cbranch_vccnz .LBB23_931
; %bb.547:
	s_and_not1_b32 vcc_lo, exec_lo, s2
	s_cbranch_vccnz .LBB23_549
.LBB23_548:
	v_cmp_neq_f32_e32 vcc_lo, 0, v23
	s_mov_b32 s3, -1
	v_cndmask_b32_e64 v3, 0, 1, vcc_lo
	global_store_b8 v[1:2], v3, off
.LBB23_549:
	s_mov_b32 s0, 0
.LBB23_550:
	s_delay_alu instid0(SALU_CYCLE_1)
	s_and_b32 vcc_lo, exec_lo, s0
	s_cbranch_vccz .LBB23_589
; %bb.551:
	v_cmp_gt_i16_e32 vcc_lo, 5, v4
	s_mov_b32 s0, -1
	s_cbranch_vccnz .LBB23_572
; %bb.552:
	v_cmp_gt_i16_e32 vcc_lo, 8, v4
	s_cbranch_vccnz .LBB23_562
; %bb.553:
	v_cmp_gt_i16_e32 vcc_lo, 9, v4
	s_cbranch_vccnz .LBB23_559
; %bb.554:
	v_cmp_lt_i16_e32 vcc_lo, 9, v4
	s_cbranch_vccz .LBB23_556
; %bb.555:
	v_cvt_f64_f32_e32 v[5:6], v23
	v_mov_b32_e32 v7, 0
	s_mov_b32 s0, 0
	s_delay_alu instid0(VALU_DEP_1)
	v_mov_b32_e32 v8, v7
	global_store_b128 v[1:2], v[5:8], off
.LBB23_556:
	s_and_not1_b32 vcc_lo, exec_lo, s0
	s_cbranch_vccnz .LBB23_558
; %bb.557:
	v_mov_b32_e32 v24, 0
	global_store_b64 v[1:2], v[23:24], off
.LBB23_558:
	s_mov_b32 s0, 0
.LBB23_559:
	s_delay_alu instid0(SALU_CYCLE_1)
	s_and_not1_b32 vcc_lo, exec_lo, s0
	s_cbranch_vccnz .LBB23_561
; %bb.560:
	v_cvt_f16_f32_e32 v3, v23
	s_delay_alu instid0(VALU_DEP_1)
	v_and_b32_e32 v3, 0xffff, v3
	global_store_b32 v[1:2], v3, off
.LBB23_561:
	s_mov_b32 s0, 0
.LBB23_562:
	s_delay_alu instid0(SALU_CYCLE_1)
	s_and_not1_b32 vcc_lo, exec_lo, s0
	s_cbranch_vccnz .LBB23_571
; %bb.563:
	v_cmp_gt_i16_e32 vcc_lo, 6, v4
	s_mov_b32 s0, -1
	s_cbranch_vccnz .LBB23_569
; %bb.564:
	v_cmp_lt_i16_e32 vcc_lo, 6, v4
	s_cbranch_vccz .LBB23_566
; %bb.565:
	v_cvt_f64_f32_e32 v[5:6], v23
	s_mov_b32 s0, 0
	global_store_b64 v[1:2], v[5:6], off
.LBB23_566:
	s_and_not1_b32 vcc_lo, exec_lo, s0
	s_cbranch_vccnz .LBB23_568
; %bb.567:
	global_store_b32 v[1:2], v23, off
.LBB23_568:
	s_mov_b32 s0, 0
.LBB23_569:
	s_delay_alu instid0(SALU_CYCLE_1)
	s_and_not1_b32 vcc_lo, exec_lo, s0
	s_cbranch_vccnz .LBB23_571
; %bb.570:
	v_cvt_f16_f32_e32 v3, v23
	global_store_b16 v[1:2], v3, off
.LBB23_571:
	s_mov_b32 s0, 0
.LBB23_572:
	s_delay_alu instid0(SALU_CYCLE_1)
	s_and_not1_b32 vcc_lo, exec_lo, s0
	s_cbranch_vccnz .LBB23_588
; %bb.573:
	v_cmp_gt_i16_e32 vcc_lo, 2, v4
	s_mov_b32 s0, -1
	s_cbranch_vccnz .LBB23_583
; %bb.574:
	v_cmp_gt_i16_e32 vcc_lo, 3, v4
	s_cbranch_vccnz .LBB23_580
; %bb.575:
	v_cmp_lt_i16_e32 vcc_lo, 3, v4
	s_cbranch_vccz .LBB23_577
; %bb.576:
	v_trunc_f32_e32 v3, v23
	s_mov_b32 s0, 0
	s_delay_alu instid0(VALU_DEP_1) | instskip(NEXT) | instid1(VALU_DEP_1)
	v_mul_f32_e64 v5, 0x2f800000, |v3|
	v_floor_f32_e32 v5, v5
	s_delay_alu instid0(VALU_DEP_1) | instskip(SKIP_2) | instid1(VALU_DEP_3)
	v_fma_f32 v6, 0xcf800000, v5, |v3|
	v_ashrrev_i32_e32 v3, 31, v3
	v_cvt_u32_f32_e32 v5, v5
	v_cvt_u32_f32_e32 v6, v6
	s_delay_alu instid0(VALU_DEP_2) | instskip(NEXT) | instid1(VALU_DEP_2)
	v_xor_b32_e32 v7, v5, v3
	v_xor_b32_e32 v6, v6, v3
	s_delay_alu instid0(VALU_DEP_1) | instskip(NEXT) | instid1(VALU_DEP_3)
	v_sub_co_u32 v5, vcc_lo, v6, v3
	v_sub_co_ci_u32_e32 v6, vcc_lo, v7, v3, vcc_lo
	global_store_b64 v[1:2], v[5:6], off
.LBB23_577:
	s_and_not1_b32 vcc_lo, exec_lo, s0
	s_cbranch_vccnz .LBB23_579
; %bb.578:
	v_cvt_i32_f32_e32 v3, v23
	global_store_b32 v[1:2], v3, off
.LBB23_579:
	s_mov_b32 s0, 0
.LBB23_580:
	s_delay_alu instid0(SALU_CYCLE_1)
	s_and_not1_b32 vcc_lo, exec_lo, s0
	s_cbranch_vccnz .LBB23_582
; %bb.581:
	v_cvt_i32_f32_e32 v3, v23
	global_store_b16 v[1:2], v3, off
.LBB23_582:
	s_mov_b32 s0, 0
.LBB23_583:
	s_delay_alu instid0(SALU_CYCLE_1)
	s_and_not1_b32 vcc_lo, exec_lo, s0
	s_cbranch_vccnz .LBB23_588
; %bb.584:
	v_cmp_lt_i16_e32 vcc_lo, 0, v4
	s_mov_b32 s0, -1
	s_cbranch_vccz .LBB23_586
; %bb.585:
	v_cvt_i32_f32_e32 v3, v23
	s_mov_b32 s0, 0
	global_store_b8 v[1:2], v3, off
.LBB23_586:
	s_and_not1_b32 vcc_lo, exec_lo, s0
	s_cbranch_vccnz .LBB23_588
; %bb.587:
	v_trunc_f32_e32 v3, v23
	s_delay_alu instid0(VALU_DEP_1) | instskip(NEXT) | instid1(VALU_DEP_1)
	v_mul_f32_e64 v5, 0x2f800000, |v3|
	v_floor_f32_e32 v5, v5
	s_delay_alu instid0(VALU_DEP_1) | instskip(SKIP_1) | instid1(VALU_DEP_2)
	v_fma_f32 v5, 0xcf800000, v5, |v3|
	v_ashrrev_i32_e32 v3, 31, v3
	v_cvt_u32_f32_e32 v5, v5
	s_delay_alu instid0(VALU_DEP_1) | instskip(NEXT) | instid1(VALU_DEP_1)
	v_xor_b32_e32 v5, v5, v3
	v_sub_nc_u32_e32 v3, v5, v3
	global_store_b8 v[1:2], v3, off
.LBB23_588:
	s_mov_b32 s3, -1
.LBB23_589:
	s_delay_alu instid0(SALU_CYCLE_1)
	s_and_not1_b32 vcc_lo, exec_lo, s3
	s_cbranch_vccnz .LBB23_666
; %bb.590:
	v_cmp_gt_i16_e32 vcc_lo, 11, v4
	v_add_co_u32 v2, s0, s12, v28
	s_delay_alu instid0(VALU_DEP_1)
	v_add_co_ci_u32_e64 v3, null, s13, 0, s0
	s_mov_b32 s2, 0
	s_mov_b32 s0, -1
	s_cbranch_vccnz .LBB23_667
; %bb.591:
	v_cmp_lt_i16_e32 vcc_lo, 25, v4
	s_mov_b32 s3, -1
	s_mov_b32 s0, 0
	s_cbranch_vccz .LBB23_624
; %bb.592:
	v_cmp_lt_i16_e32 vcc_lo, 28, v4
	s_cbranch_vccz .LBB23_608
; %bb.593:
	v_cmp_lt_i16_e32 vcc_lo, 43, v4
	;; [unrolled: 3-line block ×3, first 2 shown]
	s_cbranch_vccz .LBB23_598
; %bb.595:
	v_cmp_eq_u16_e32 vcc_lo, 46, v4
	s_mov_b32 s0, -1
	s_cbranch_vccz .LBB23_597
; %bb.596:
	v_bfe_u32 v1, v0, 16, 1
	v_cmp_o_f32_e32 vcc_lo, v0, v0
	s_mov_b32 s0, 0
	s_delay_alu instid0(VALU_DEP_2) | instskip(NEXT) | instid1(VALU_DEP_1)
	v_add3_u32 v1, v0, v1, 0x7fff
	v_lshrrev_b32_e32 v1, 16, v1
	s_delay_alu instid0(VALU_DEP_1)
	v_cndmask_b32_e32 v1, 0x7fc0, v1, vcc_lo
	global_store_b32 v[2:3], v1, off
.LBB23_597:
	s_mov_b32 s3, 0
.LBB23_598:
	s_delay_alu instid0(SALU_CYCLE_1)
	s_and_b32 vcc_lo, exec_lo, s3
	s_cbranch_vccz .LBB23_603
; %bb.599:
	v_cmp_eq_u16_e32 vcc_lo, 44, v4
	s_mov_b32 s0, -1
	s_cbranch_vccz .LBB23_603
; %bb.600:
	v_bfe_u32 v5, v0, 23, 8
	v_mov_b32_e32 v1, 0xff
	s_mov_b32 s3, exec_lo
	s_delay_alu instid0(VALU_DEP_2)
	v_cmpx_ne_u32_e32 0xff, v5
; %bb.601:
	v_and_b32_e32 v1, 0x400000, v0
	v_and_or_b32 v5, 0x3fffff, v0, v5
	s_delay_alu instid0(VALU_DEP_2) | instskip(NEXT) | instid1(VALU_DEP_2)
	v_cmp_ne_u32_e32 vcc_lo, 0, v1
	v_cmp_ne_u32_e64 s0, 0, v5
	v_lshrrev_b32_e32 v1, 23, v0
	s_delay_alu instid0(VALU_DEP_2) | instskip(NEXT) | instid1(SALU_CYCLE_1)
	s_and_b32 s0, vcc_lo, s0
	v_cndmask_b32_e64 v5, 0, 1, s0
	s_delay_alu instid0(VALU_DEP_1)
	v_add_nc_u32_e32 v1, v1, v5
; %bb.602:
	s_or_b32 exec_lo, exec_lo, s3
	s_mov_b32 s0, 0
	global_store_b8 v[2:3], v1, off
.LBB23_603:
	s_mov_b32 s3, 0
.LBB23_604:
	s_delay_alu instid0(SALU_CYCLE_1)
	s_and_b32 vcc_lo, exec_lo, s3
	s_cbranch_vccz .LBB23_607
; %bb.605:
	v_cmp_eq_u16_e32 vcc_lo, 29, v4
	s_mov_b32 s0, -1
	s_cbranch_vccz .LBB23_607
; %bb.606:
	v_trunc_f32_e32 v1, v0
	s_mov_b32 s0, 0
	s_delay_alu instid0(VALU_DEP_1) | instskip(NEXT) | instid1(VALU_DEP_1)
	v_mul_f32_e32 v5, 0x2f800000, v1
	v_floor_f32_e32 v5, v5
	s_delay_alu instid0(VALU_DEP_1) | instskip(SKIP_1) | instid1(VALU_DEP_2)
	v_fmamk_f32 v1, v5, 0xcf800000, v1
	v_cvt_u32_f32_e32 v6, v5
	v_cvt_u32_f32_e32 v5, v1
	global_store_b64 v[2:3], v[5:6], off
.LBB23_607:
	s_mov_b32 s3, 0
.LBB23_608:
	s_delay_alu instid0(SALU_CYCLE_1)
	s_and_b32 vcc_lo, exec_lo, s3
	s_cbranch_vccz .LBB23_623
; %bb.609:
	v_cmp_gt_i16_e32 vcc_lo, 27, v4
	s_mov_b32 s3, -1
	s_cbranch_vccnz .LBB23_615
; %bb.610:
	v_cmp_lt_i16_e32 vcc_lo, 27, v4
	v_cvt_u32_f32_e32 v1, v0
	s_cbranch_vccz .LBB23_612
; %bb.611:
	s_mov_b32 s3, 0
	global_store_b32 v[2:3], v1, off
.LBB23_612:
	s_and_not1_b32 vcc_lo, exec_lo, s3
	s_cbranch_vccnz .LBB23_614
; %bb.613:
	global_store_b16 v[2:3], v1, off
.LBB23_614:
	s_mov_b32 s3, 0
.LBB23_615:
	s_delay_alu instid0(SALU_CYCLE_1)
	s_and_not1_b32 vcc_lo, exec_lo, s3
	s_cbranch_vccnz .LBB23_623
; %bb.616:
	v_and_b32_e32 v1, 0x7fffffff, v0
	v_mov_b32_e32 v5, 0x80
	s_mov_b32 s3, exec_lo
	s_delay_alu instid0(VALU_DEP_2)
	v_cmpx_gt_u32_e32 0x43800000, v1
	s_cbranch_execz .LBB23_622
; %bb.617:
	v_cmp_lt_u32_e32 vcc_lo, 0x3bffffff, v1
	s_mov_b32 s4, 0
                                        ; implicit-def: $vgpr1
	s_and_saveexec_b32 s5, vcc_lo
	s_delay_alu instid0(SALU_CYCLE_1)
	s_xor_b32 s5, exec_lo, s5
	s_cbranch_execz .LBB23_1110
; %bb.618:
	v_bfe_u32 v1, v0, 20, 1
	s_mov_b32 s4, exec_lo
	s_delay_alu instid0(VALU_DEP_1) | instskip(NEXT) | instid1(VALU_DEP_1)
	v_add3_u32 v1, v0, v1, 0x487ffff
	v_lshrrev_b32_e32 v1, 20, v1
	s_or_saveexec_b32 s5, s5
                                        ; implicit-def: $sgpr6
	s_delay_alu instid0(SALU_CYCLE_1)
	s_xor_b32 exec_lo, exec_lo, s5
	s_cbranch_execnz .LBB23_1111
.LBB23_619:
	s_or_b32 exec_lo, exec_lo, s5
	v_mov_b32_e32 v5, s6
	s_and_saveexec_b32 s5, s4
.LBB23_620:
	v_lshrrev_b32_e32 v5, 24, v0
	s_delay_alu instid0(VALU_DEP_1)
	v_and_or_b32 v5, 0x80, v5, v1
.LBB23_621:
	s_or_b32 exec_lo, exec_lo, s5
.LBB23_622:
	s_delay_alu instid0(SALU_CYCLE_1)
	s_or_b32 exec_lo, exec_lo, s3
	global_store_b8 v[2:3], v5, off
.LBB23_623:
	s_mov_b32 s3, 0
.LBB23_624:
	s_delay_alu instid0(SALU_CYCLE_1)
	s_and_b32 vcc_lo, exec_lo, s3
	s_cbranch_vccz .LBB23_664
; %bb.625:
	v_cmp_lt_i16_e32 vcc_lo, 22, v4
	s_mov_b32 s2, -1
	s_cbranch_vccz .LBB23_657
; %bb.626:
	v_cmp_gt_i16_e32 vcc_lo, 24, v4
	s_cbranch_vccnz .LBB23_646
; %bb.627:
	v_cmp_lt_i16_e32 vcc_lo, 24, v4
	s_cbranch_vccz .LBB23_635
; %bb.628:
	v_and_b32_e32 v1, 0x7fffffff, v0
	v_mov_b32_e32 v5, 0x80
	s_mov_b32 s2, exec_lo
	s_delay_alu instid0(VALU_DEP_2)
	v_cmpx_gt_u32_e32 0x47800000, v1
	s_cbranch_execz .LBB23_634
; %bb.629:
	v_cmp_lt_u32_e32 vcc_lo, 0x37ffffff, v1
	s_mov_b32 s3, 0
                                        ; implicit-def: $vgpr1
	s_and_saveexec_b32 s4, vcc_lo
	s_delay_alu instid0(SALU_CYCLE_1)
	s_xor_b32 s4, exec_lo, s4
	s_cbranch_execz .LBB23_1120
; %bb.630:
	v_bfe_u32 v1, v0, 21, 1
	s_mov_b32 s3, exec_lo
	s_delay_alu instid0(VALU_DEP_1) | instskip(NEXT) | instid1(VALU_DEP_1)
	v_add3_u32 v1, v0, v1, 0x88fffff
	v_lshrrev_b32_e32 v1, 21, v1
	s_or_saveexec_b32 s4, s4
                                        ; implicit-def: $sgpr5
	s_delay_alu instid0(SALU_CYCLE_1)
	s_xor_b32 exec_lo, exec_lo, s4
	s_cbranch_execnz .LBB23_1121
.LBB23_631:
	s_or_b32 exec_lo, exec_lo, s4
	v_mov_b32_e32 v5, s5
	s_and_saveexec_b32 s4, s3
.LBB23_632:
	v_lshrrev_b32_e32 v5, 24, v0
	s_delay_alu instid0(VALU_DEP_1)
	v_and_or_b32 v5, 0x80, v5, v1
.LBB23_633:
	s_or_b32 exec_lo, exec_lo, s4
.LBB23_634:
	s_delay_alu instid0(SALU_CYCLE_1)
	s_or_b32 exec_lo, exec_lo, s2
	s_mov_b32 s2, 0
	global_store_b8 v[2:3], v5, off
.LBB23_635:
	s_and_b32 vcc_lo, exec_lo, s2
	s_cbranch_vccz .LBB23_645
; %bb.636:
	v_and_b32_e32 v5, 0x7fffffff, v0
	s_mov_b32 s2, exec_lo
                                        ; implicit-def: $vgpr1
	s_delay_alu instid0(VALU_DEP_1)
	v_cmpx_gt_u32_e32 0x43f00000, v5
	s_xor_b32 s2, exec_lo, s2
	s_cbranch_execz .LBB23_642
; %bb.637:
	s_mov_b32 s3, exec_lo
                                        ; implicit-def: $vgpr1
	v_cmpx_lt_u32_e32 0x3c7fffff, v5
	s_xor_b32 s3, exec_lo, s3
; %bb.638:
	v_bfe_u32 v1, v0, 20, 1
	s_delay_alu instid0(VALU_DEP_1) | instskip(NEXT) | instid1(VALU_DEP_1)
	v_add3_u32 v1, v0, v1, 0x407ffff
	v_and_b32_e32 v5, 0xff00000, v1
	v_lshrrev_b32_e32 v1, 20, v1
	s_delay_alu instid0(VALU_DEP_2) | instskip(NEXT) | instid1(VALU_DEP_2)
	v_cmp_ne_u32_e32 vcc_lo, 0x7f00000, v5
	v_cndmask_b32_e32 v1, 0x7e, v1, vcc_lo
; %bb.639:
	s_and_not1_saveexec_b32 s3, s3
; %bb.640:
	v_add_f32_e64 v1, 0x46800000, |v0|
; %bb.641:
	s_or_b32 exec_lo, exec_lo, s3
                                        ; implicit-def: $vgpr5
.LBB23_642:
	s_and_not1_saveexec_b32 s2, s2
; %bb.643:
	v_mov_b32_e32 v1, 0x7f
	v_cmp_lt_u32_e32 vcc_lo, 0x7f800000, v5
	s_delay_alu instid0(VALU_DEP_2)
	v_cndmask_b32_e32 v1, 0x7e, v1, vcc_lo
; %bb.644:
	s_or_b32 exec_lo, exec_lo, s2
	v_lshrrev_b32_e32 v5, 24, v0
	s_delay_alu instid0(VALU_DEP_1)
	v_and_or_b32 v1, 0x80, v5, v1
	global_store_b8 v[2:3], v1, off
.LBB23_645:
	s_mov_b32 s2, 0
.LBB23_646:
	s_delay_alu instid0(SALU_CYCLE_1)
	s_and_not1_b32 vcc_lo, exec_lo, s2
	s_cbranch_vccnz .LBB23_656
; %bb.647:
	v_and_b32_e32 v5, 0x7fffffff, v0
	s_mov_b32 s2, exec_lo
                                        ; implicit-def: $vgpr1
	s_delay_alu instid0(VALU_DEP_1)
	v_cmpx_gt_u32_e32 0x47800000, v5
	s_xor_b32 s2, exec_lo, s2
	s_cbranch_execz .LBB23_653
; %bb.648:
	s_mov_b32 s3, exec_lo
                                        ; implicit-def: $vgpr1
	v_cmpx_lt_u32_e32 0x387fffff, v5
	s_xor_b32 s3, exec_lo, s3
; %bb.649:
	v_bfe_u32 v1, v0, 21, 1
	s_delay_alu instid0(VALU_DEP_1) | instskip(NEXT) | instid1(VALU_DEP_1)
	v_add3_u32 v1, v0, v1, 0x80fffff
	v_lshrrev_b32_e32 v1, 21, v1
; %bb.650:
	s_and_not1_saveexec_b32 s3, s3
; %bb.651:
	v_add_f32_e64 v1, 0x43000000, |v0|
; %bb.652:
	s_or_b32 exec_lo, exec_lo, s3
                                        ; implicit-def: $vgpr5
.LBB23_653:
	s_and_not1_saveexec_b32 s2, s2
; %bb.654:
	v_mov_b32_e32 v1, 0x7f
	v_cmp_lt_u32_e32 vcc_lo, 0x7f800000, v5
	s_delay_alu instid0(VALU_DEP_2)
	v_cndmask_b32_e32 v1, 0x7c, v1, vcc_lo
; %bb.655:
	s_or_b32 exec_lo, exec_lo, s2
	v_lshrrev_b32_e32 v5, 24, v0
	s_delay_alu instid0(VALU_DEP_1)
	v_and_or_b32 v1, 0x80, v5, v1
	global_store_b8 v[2:3], v1, off
.LBB23_656:
	s_mov_b32 s2, 0
.LBB23_657:
	s_delay_alu instid0(SALU_CYCLE_1)
	s_and_not1_b32 vcc_lo, exec_lo, s2
	s_mov_b32 s2, 0
	s_cbranch_vccnz .LBB23_664
; %bb.658:
	v_cmp_lt_i16_e32 vcc_lo, 14, v4
	s_mov_b32 s2, -1
	s_cbranch_vccz .LBB23_662
; %bb.659:
	v_cmp_eq_u16_e32 vcc_lo, 15, v4
	s_mov_b32 s0, -1
	s_cbranch_vccz .LBB23_661
; %bb.660:
	v_bfe_u32 v1, v0, 16, 1
	v_cmp_o_f32_e32 vcc_lo, v0, v0
	s_mov_b32 s0, 0
	s_delay_alu instid0(VALU_DEP_2) | instskip(NEXT) | instid1(VALU_DEP_1)
	v_add3_u32 v1, v0, v1, 0x7fff
	v_lshrrev_b32_e32 v1, 16, v1
	s_delay_alu instid0(VALU_DEP_1)
	v_cndmask_b32_e32 v1, 0x7fc0, v1, vcc_lo
	global_store_b16 v[2:3], v1, off
.LBB23_661:
	s_mov_b32 s2, 0
.LBB23_662:
	s_delay_alu instid0(SALU_CYCLE_1)
	s_and_b32 vcc_lo, exec_lo, s2
	s_mov_b32 s2, 0
	s_cbranch_vccz .LBB23_664
; %bb.663:
	v_cmp_ne_u16_e64 s0, 11, v4
	s_mov_b32 s2, -1
.LBB23_664:
	s_delay_alu instid0(VALU_DEP_1)
	s_and_b32 vcc_lo, exec_lo, s0
	s_cbranch_vccnz .LBB23_1114
.LBB23_665:
	s_mov_b32 s0, 0
	s_branch .LBB23_667
.LBB23_666:
	s_mov_b32 s0, 0
	s_mov_b32 s2, 0
                                        ; implicit-def: $vgpr4
                                        ; implicit-def: $vgpr2_vgpr3
.LBB23_667:
	s_and_not1_b32 s3, s16, exec_lo
	s_and_b32 s1, s1, exec_lo
	s_and_b32 s0, s0, exec_lo
	;; [unrolled: 1-line block ×3, first 2 shown]
	s_or_b32 s16, s3, s1
.LBB23_668:
	s_or_b32 exec_lo, exec_lo, s17
	s_and_saveexec_b32 s1, s16
	s_cbranch_execz .LBB23_671
; %bb.669:
	; divergent unreachable
	s_or_b32 exec_lo, exec_lo, s1
	s_and_saveexec_b32 s1, s37
	s_delay_alu instid0(SALU_CYCLE_1)
	s_xor_b32 s1, exec_lo, s1
	s_cbranch_execnz .LBB23_672
.LBB23_670:
	s_or_b32 exec_lo, exec_lo, s1
	s_and_saveexec_b32 s1, s0
	s_cbranch_execnz .LBB23_673
	s_branch .LBB23_710
.LBB23_671:
	s_or_b32 exec_lo, exec_lo, s1
	s_and_saveexec_b32 s1, s37
	s_delay_alu instid0(SALU_CYCLE_1)
	s_xor_b32 s1, exec_lo, s1
	s_cbranch_execz .LBB23_670
.LBB23_672:
	v_cmp_neq_f32_e32 vcc_lo, 0, v0
	v_cndmask_b32_e64 v1, 0, 1, vcc_lo
	global_store_b8 v[2:3], v1, off
	s_or_b32 exec_lo, exec_lo, s1
	s_and_saveexec_b32 s1, s0
	s_cbranch_execz .LBB23_710
.LBB23_673:
	v_cmp_gt_i16_e32 vcc_lo, 5, v4
	s_mov_b32 s0, -1
	s_cbranch_vccnz .LBB23_694
; %bb.674:
	v_cmp_gt_i16_e32 vcc_lo, 8, v4
	s_cbranch_vccnz .LBB23_684
; %bb.675:
	v_cmp_gt_i16_e32 vcc_lo, 9, v4
	s_cbranch_vccnz .LBB23_681
; %bb.676:
	v_cmp_lt_i16_e32 vcc_lo, 9, v4
	s_cbranch_vccz .LBB23_678
; %bb.677:
	v_cvt_f64_f32_e32 v[5:6], v0
	v_mov_b32_e32 v7, 0
	s_mov_b32 s0, 0
	s_delay_alu instid0(VALU_DEP_1)
	v_mov_b32_e32 v8, v7
	global_store_b128 v[2:3], v[5:8], off
.LBB23_678:
	s_and_not1_b32 vcc_lo, exec_lo, s0
	s_cbranch_vccnz .LBB23_680
; %bb.679:
	v_mov_b32_e32 v1, 0
	global_store_b64 v[2:3], v[0:1], off
.LBB23_680:
	s_mov_b32 s0, 0
.LBB23_681:
	s_delay_alu instid0(SALU_CYCLE_1)
	s_and_not1_b32 vcc_lo, exec_lo, s0
	s_cbranch_vccnz .LBB23_683
; %bb.682:
	v_cvt_f16_f32_e32 v1, v0
	s_delay_alu instid0(VALU_DEP_1)
	v_and_b32_e32 v1, 0xffff, v1
	global_store_b32 v[2:3], v1, off
.LBB23_683:
	s_mov_b32 s0, 0
.LBB23_684:
	s_delay_alu instid0(SALU_CYCLE_1)
	s_and_not1_b32 vcc_lo, exec_lo, s0
	s_cbranch_vccnz .LBB23_693
; %bb.685:
	v_cmp_gt_i16_e32 vcc_lo, 6, v4
	s_mov_b32 s0, -1
	s_cbranch_vccnz .LBB23_691
; %bb.686:
	v_cmp_lt_i16_e32 vcc_lo, 6, v4
	s_cbranch_vccz .LBB23_688
; %bb.687:
	v_cvt_f64_f32_e32 v[5:6], v0
	s_mov_b32 s0, 0
	global_store_b64 v[2:3], v[5:6], off
.LBB23_688:
	s_and_not1_b32 vcc_lo, exec_lo, s0
	s_cbranch_vccnz .LBB23_690
; %bb.689:
	global_store_b32 v[2:3], v0, off
.LBB23_690:
	s_mov_b32 s0, 0
.LBB23_691:
	s_delay_alu instid0(SALU_CYCLE_1)
	s_and_not1_b32 vcc_lo, exec_lo, s0
	s_cbranch_vccnz .LBB23_693
; %bb.692:
	v_cvt_f16_f32_e32 v1, v0
	global_store_b16 v[2:3], v1, off
.LBB23_693:
	s_mov_b32 s0, 0
.LBB23_694:
	s_delay_alu instid0(SALU_CYCLE_1)
	s_and_not1_b32 vcc_lo, exec_lo, s0
	s_cbranch_vccnz .LBB23_710
; %bb.695:
	v_cmp_gt_i16_e32 vcc_lo, 2, v4
	s_mov_b32 s0, -1
	s_cbranch_vccnz .LBB23_705
; %bb.696:
	v_cmp_gt_i16_e32 vcc_lo, 3, v4
	s_cbranch_vccnz .LBB23_702
; %bb.697:
	v_cmp_lt_i16_e32 vcc_lo, 3, v4
	s_cbranch_vccz .LBB23_699
; %bb.698:
	v_trunc_f32_e32 v1, v0
	s_mov_b32 s0, 0
	s_delay_alu instid0(VALU_DEP_1) | instskip(NEXT) | instid1(VALU_DEP_1)
	v_mul_f32_e64 v5, 0x2f800000, |v1|
	v_floor_f32_e32 v5, v5
	s_delay_alu instid0(VALU_DEP_1) | instskip(SKIP_2) | instid1(VALU_DEP_3)
	v_fma_f32 v6, 0xcf800000, v5, |v1|
	v_ashrrev_i32_e32 v1, 31, v1
	v_cvt_u32_f32_e32 v5, v5
	v_cvt_u32_f32_e32 v6, v6
	s_delay_alu instid0(VALU_DEP_2) | instskip(NEXT) | instid1(VALU_DEP_2)
	v_xor_b32_e32 v7, v5, v1
	v_xor_b32_e32 v6, v6, v1
	s_delay_alu instid0(VALU_DEP_1) | instskip(NEXT) | instid1(VALU_DEP_3)
	v_sub_co_u32 v5, vcc_lo, v6, v1
	v_sub_co_ci_u32_e32 v6, vcc_lo, v7, v1, vcc_lo
	global_store_b64 v[2:3], v[5:6], off
.LBB23_699:
	s_and_not1_b32 vcc_lo, exec_lo, s0
	s_cbranch_vccnz .LBB23_701
; %bb.700:
	v_cvt_i32_f32_e32 v1, v0
	global_store_b32 v[2:3], v1, off
.LBB23_701:
	s_mov_b32 s0, 0
.LBB23_702:
	s_delay_alu instid0(SALU_CYCLE_1)
	s_and_not1_b32 vcc_lo, exec_lo, s0
	s_cbranch_vccnz .LBB23_704
; %bb.703:
	v_cvt_i32_f32_e32 v1, v0
	global_store_b16 v[2:3], v1, off
.LBB23_704:
	s_mov_b32 s0, 0
.LBB23_705:
	s_delay_alu instid0(SALU_CYCLE_1)
	s_and_not1_b32 vcc_lo, exec_lo, s0
	s_cbranch_vccnz .LBB23_710
; %bb.706:
	v_cmp_lt_i16_e32 vcc_lo, 0, v4
	s_mov_b32 s0, -1
	s_cbranch_vccz .LBB23_708
; %bb.707:
	v_cvt_i32_f32_e32 v1, v0
	s_mov_b32 s0, 0
	global_store_b8 v[2:3], v1, off
.LBB23_708:
	s_and_not1_b32 vcc_lo, exec_lo, s0
	s_cbranch_vccnz .LBB23_710
; %bb.709:
	v_trunc_f32_e32 v0, v0
	s_delay_alu instid0(VALU_DEP_1) | instskip(NEXT) | instid1(VALU_DEP_1)
	v_mul_f32_e64 v1, 0x2f800000, |v0|
	v_floor_f32_e32 v1, v1
	s_delay_alu instid0(VALU_DEP_1) | instskip(SKIP_1) | instid1(VALU_DEP_2)
	v_fma_f32 v1, 0xcf800000, v1, |v0|
	v_ashrrev_i32_e32 v0, 31, v0
	v_cvt_u32_f32_e32 v1, v1
	s_delay_alu instid0(VALU_DEP_1) | instskip(NEXT) | instid1(VALU_DEP_1)
	v_xor_b32_e32 v1, v1, v0
	v_sub_nc_u32_e32 v0, v1, v0
	global_store_b8 v[2:3], v0, off
	s_endpgm
.LBB23_710:
	s_endpgm
.LBB23_711:
	s_mov_b32 s4, -1
                                        ; implicit-def: $vgpr24
                                        ; implicit-def: $vgpr2
	s_branch .LBB23_716
.LBB23_712:
	v_mov_b32_e32 v0, v25
	v_mov_b32_e32 v2, 0
.LBB23_713:
	s_and_b32 s6, s6, 3
	s_delay_alu instid0(SALU_CYCLE_1)
	s_cmp_eq_u32 s6, 0
	s_cbranch_scc1 .LBB23_716
; %bb.714:
	s_lshl_b32 s0, s5, 3
	s_mul_i32 s2, s5, 12
	s_add_u32 s0, s0, s14
	s_addc_u32 s1, s15, 0
	s_add_u32 s0, s0, 0xc4
	s_addc_u32 s1, s1, 0
	;; [unrolled: 2-line block ×3, first 2 shown]
	.p2align	6
.LBB23_715:                             ; =>This Inner Loop Header: Depth=1
	s_clause 0x1
	s_load_b64 s[8:9], s[2:3], 0x4
	s_load_b32 s5, s[2:3], 0xc
	s_load_b64 s[10:11], s[0:1], 0x0
	s_add_u32 s2, s2, 12
	s_addc_u32 s3, s3, 0
	s_add_u32 s0, s0, 8
	s_addc_u32 s1, s1, 0
	s_add_i32 s6, s6, -1
	s_delay_alu instid0(SALU_CYCLE_1) | instskip(SKIP_2) | instid1(VALU_DEP_1)
	s_cmp_lg_u32 s6, 0
	s_waitcnt lgkmcnt(0)
	v_mul_hi_u32 v1, s9, v0
	v_add_nc_u32_e32 v1, v0, v1
	s_delay_alu instid0(VALU_DEP_1) | instskip(NEXT) | instid1(VALU_DEP_1)
	v_lshrrev_b32_e32 v1, s5, v1
	v_mul_lo_u32 v3, v1, s8
	s_delay_alu instid0(VALU_DEP_1) | instskip(NEXT) | instid1(VALU_DEP_1)
	v_sub_nc_u32_e32 v0, v0, v3
	v_mad_u64_u32 v[3:4], null, v0, s10, v[24:25]
	s_delay_alu instid0(VALU_DEP_1) | instskip(SKIP_2) | instid1(VALU_DEP_2)
	v_mov_b32_e32 v24, v3
	v_mad_u64_u32 v[4:5], null, v0, s11, v[2:3]
	v_mov_b32_e32 v0, v1
	v_mov_b32_e32 v2, v4
	s_cbranch_scc1 .LBB23_715
.LBB23_716:
	s_and_not1_b32 vcc_lo, exec_lo, s4
	s_cbranch_vccnz .LBB23_719
; %bb.717:
	s_waitcnt lgkmcnt(0)
	v_mul_hi_u32 v0, s25, v25
	s_and_not1_b32 vcc_lo, exec_lo, s40
	s_delay_alu instid0(VALU_DEP_1) | instskip(NEXT) | instid1(VALU_DEP_1)
	v_add_nc_u32_e32 v0, v25, v0
	v_lshrrev_b32_e32 v0, s26, v0
	s_delay_alu instid0(VALU_DEP_1) | instskip(NEXT) | instid1(VALU_DEP_1)
	v_mul_lo_u32 v1, v0, s24
	v_sub_nc_u32_e32 v1, v25, v1
	s_delay_alu instid0(VALU_DEP_1)
	v_mul_lo_u32 v24, v1, s20
	v_mul_lo_u32 v2, v1, s21
	s_cbranch_vccnz .LBB23_719
; %bb.718:
	v_mul_hi_u32 v1, s28, v0
	s_delay_alu instid0(VALU_DEP_1) | instskip(NEXT) | instid1(VALU_DEP_1)
	v_add_nc_u32_e32 v1, v0, v1
	v_lshrrev_b32_e32 v1, s29, v1
	s_delay_alu instid0(VALU_DEP_1) | instskip(NEXT) | instid1(VALU_DEP_1)
	v_mul_lo_u32 v1, v1, s27
	v_sub_nc_u32_e32 v5, v0, v1
	s_delay_alu instid0(VALU_DEP_1) | instskip(SKIP_1) | instid1(VALU_DEP_2)
	v_mad_u64_u32 v[0:1], null, v5, s22, v[24:25]
	v_mad_u64_u32 v[3:4], null, v5, s23, v[2:3]
	v_mov_b32_e32 v24, v0
	s_delay_alu instid0(VALU_DEP_2)
	v_mov_b32_e32 v2, v3
.LBB23_719:
	s_waitcnt lgkmcnt(0)
	v_dual_mov_b32 v0, s18 :: v_dual_mov_b32 v1, s19
	v_mov_b32_e32 v3, v23
	s_getpc_b64 s[0:1]
	s_add_u32 s0, s0, _ZN2at6native6invokeIZZZNS0_12_GLOBAL__N_130modified_bessel_k0_kernel_cudaERNS_18TensorIteratorBaseEENKUlvE_clEvENKUlvE0_clEvEUlfE_j15function_traitsIS7_EEENT1_11result_typeERKT_PrKPcPKT0_PKN3c1010ScalarTypeEi@rel32@lo+4
	s_addc_u32 s1, s1, _ZN2at6native6invokeIZZZNS0_12_GLOBAL__N_130modified_bessel_k0_kernel_cudaERNS_18TensorIteratorBaseEENKUlvE_clEvENKUlvE0_clEvEUlfE_j15function_traitsIS7_EEENT1_11result_typeERKT_PrKPcPKT0_PKN3c1010ScalarTypeEi@rel32@hi+12
	s_delay_alu instid0(SALU_CYCLE_1) | instskip(SKIP_2) | instid1(VALU_DEP_1)
	s_swappc_b64 s[30:31], s[0:1]
	v_and_b32_e32 v4, 0xff, v26
	v_add_co_u32 v2, s0, s16, v24
	v_add_co_ci_u32_e64 v3, null, s17, 0, s0
	s_delay_alu instid0(VALU_DEP_3)
	v_cmp_gt_i16_e32 vcc_lo, 11, v4
	s_mov_b32 s1, 0
	s_mov_b32 s2, -1
	s_mov_b32 s0, s44
	s_cbranch_vccnz .LBB23_726
; %bb.720:
	v_cmp_lt_i16_e32 vcc_lo, 25, v4
	s_cbranch_vccz .LBB23_766
; %bb.721:
	v_cmp_lt_i16_e32 vcc_lo, 28, v4
	s_cbranch_vccz .LBB23_767
	;; [unrolled: 3-line block ×4, first 2 shown]
; %bb.724:
	v_cmp_eq_u16_e32 vcc_lo, 46, v4
	s_mov_b32 s2, 0
	s_mov_b32 s0, -1
	s_cbranch_vccz .LBB23_786
; %bb.725:
	v_bfe_u32 v1, v0, 16, 1
	v_cmp_o_f32_e32 vcc_lo, v0, v0
	s_mov_b32 s1, -1
	s_mov_b32 s0, 0
	s_delay_alu instid0(VALU_DEP_2) | instskip(NEXT) | instid1(VALU_DEP_1)
	v_add3_u32 v1, v0, v1, 0x7fff
	v_lshrrev_b32_e32 v1, 16, v1
	s_delay_alu instid0(VALU_DEP_1)
	v_cndmask_b32_e32 v1, 0x7fc0, v1, vcc_lo
	global_store_b32 v[2:3], v1, off
	s_branch .LBB23_786
.LBB23_726:
	s_and_b32 vcc_lo, exec_lo, s2
	s_cbranch_vccz .LBB23_855
; %bb.727:
	v_cmp_gt_i16_e32 vcc_lo, 5, v4
	s_mov_b32 s1, -1
	s_cbranch_vccnz .LBB23_748
; %bb.728:
	v_cmp_gt_i16_e32 vcc_lo, 8, v4
	s_cbranch_vccnz .LBB23_738
; %bb.729:
	v_cmp_gt_i16_e32 vcc_lo, 9, v4
	s_cbranch_vccnz .LBB23_735
; %bb.730:
	v_cmp_lt_i16_e32 vcc_lo, 9, v4
	s_cbranch_vccz .LBB23_732
; %bb.731:
	v_cvt_f64_f32_e32 v[5:6], v0
	v_mov_b32_e32 v7, 0
	s_mov_b32 s1, 0
	s_delay_alu instid0(VALU_DEP_1)
	v_mov_b32_e32 v8, v7
	global_store_b128 v[2:3], v[5:8], off
.LBB23_732:
	s_and_not1_b32 vcc_lo, exec_lo, s1
	s_cbranch_vccnz .LBB23_734
; %bb.733:
	v_mov_b32_e32 v1, 0
	global_store_b64 v[2:3], v[0:1], off
.LBB23_734:
	s_mov_b32 s1, 0
.LBB23_735:
	s_delay_alu instid0(SALU_CYCLE_1)
	s_and_not1_b32 vcc_lo, exec_lo, s1
	s_cbranch_vccnz .LBB23_737
; %bb.736:
	v_cvt_f16_f32_e32 v1, v0
	s_delay_alu instid0(VALU_DEP_1)
	v_and_b32_e32 v1, 0xffff, v1
	global_store_b32 v[2:3], v1, off
.LBB23_737:
	s_mov_b32 s1, 0
.LBB23_738:
	s_delay_alu instid0(SALU_CYCLE_1)
	s_and_not1_b32 vcc_lo, exec_lo, s1
	s_cbranch_vccnz .LBB23_747
; %bb.739:
	v_cmp_gt_i16_e32 vcc_lo, 6, v4
	s_mov_b32 s1, -1
	s_cbranch_vccnz .LBB23_745
; %bb.740:
	v_cmp_lt_i16_e32 vcc_lo, 6, v4
	s_cbranch_vccz .LBB23_742
; %bb.741:
	v_cvt_f64_f32_e32 v[5:6], v0
	s_mov_b32 s1, 0
	global_store_b64 v[2:3], v[5:6], off
.LBB23_742:
	s_and_not1_b32 vcc_lo, exec_lo, s1
	s_cbranch_vccnz .LBB23_744
; %bb.743:
	global_store_b32 v[2:3], v0, off
.LBB23_744:
	s_mov_b32 s1, 0
.LBB23_745:
	s_delay_alu instid0(SALU_CYCLE_1)
	s_and_not1_b32 vcc_lo, exec_lo, s1
	s_cbranch_vccnz .LBB23_747
; %bb.746:
	v_cvt_f16_f32_e32 v1, v0
	global_store_b16 v[2:3], v1, off
.LBB23_747:
	s_mov_b32 s1, 0
.LBB23_748:
	s_delay_alu instid0(SALU_CYCLE_1)
	s_and_not1_b32 vcc_lo, exec_lo, s1
	s_cbranch_vccnz .LBB23_764
; %bb.749:
	v_cmp_gt_i16_e32 vcc_lo, 2, v4
	s_mov_b32 s1, -1
	s_cbranch_vccnz .LBB23_759
; %bb.750:
	v_cmp_gt_i16_e32 vcc_lo, 3, v4
	s_cbranch_vccnz .LBB23_756
; %bb.751:
	v_cmp_lt_i16_e32 vcc_lo, 3, v4
	s_cbranch_vccz .LBB23_753
; %bb.752:
	v_trunc_f32_e32 v1, v0
	s_mov_b32 s1, 0
	s_delay_alu instid0(VALU_DEP_1) | instskip(NEXT) | instid1(VALU_DEP_1)
	v_mul_f32_e64 v5, 0x2f800000, |v1|
	v_floor_f32_e32 v5, v5
	s_delay_alu instid0(VALU_DEP_1) | instskip(SKIP_2) | instid1(VALU_DEP_3)
	v_fma_f32 v6, 0xcf800000, v5, |v1|
	v_ashrrev_i32_e32 v1, 31, v1
	v_cvt_u32_f32_e32 v5, v5
	v_cvt_u32_f32_e32 v6, v6
	s_delay_alu instid0(VALU_DEP_2) | instskip(NEXT) | instid1(VALU_DEP_2)
	v_xor_b32_e32 v7, v5, v1
	v_xor_b32_e32 v6, v6, v1
	s_delay_alu instid0(VALU_DEP_1) | instskip(NEXT) | instid1(VALU_DEP_3)
	v_sub_co_u32 v5, vcc_lo, v6, v1
	v_sub_co_ci_u32_e32 v6, vcc_lo, v7, v1, vcc_lo
	global_store_b64 v[2:3], v[5:6], off
.LBB23_753:
	s_and_not1_b32 vcc_lo, exec_lo, s1
	s_cbranch_vccnz .LBB23_755
; %bb.754:
	v_cvt_i32_f32_e32 v1, v0
	global_store_b32 v[2:3], v1, off
.LBB23_755:
	s_mov_b32 s1, 0
.LBB23_756:
	s_delay_alu instid0(SALU_CYCLE_1)
	s_and_not1_b32 vcc_lo, exec_lo, s1
	s_cbranch_vccnz .LBB23_758
; %bb.757:
	v_cvt_i32_f32_e32 v1, v0
	global_store_b16 v[2:3], v1, off
.LBB23_758:
	s_mov_b32 s1, 0
.LBB23_759:
	s_delay_alu instid0(SALU_CYCLE_1)
	s_and_not1_b32 vcc_lo, exec_lo, s1
	s_cbranch_vccnz .LBB23_764
; %bb.760:
	v_cmp_lt_i16_e32 vcc_lo, 0, v4
	s_mov_b32 s1, -1
	s_cbranch_vccz .LBB23_762
; %bb.761:
	v_cvt_i32_f32_e32 v1, v0
	s_mov_b32 s1, 0
	global_store_b8 v[2:3], v1, off
.LBB23_762:
	s_and_not1_b32 vcc_lo, exec_lo, s1
	s_cbranch_vccnz .LBB23_764
; %bb.763:
	v_trunc_f32_e32 v0, v0
	s_delay_alu instid0(VALU_DEP_1) | instskip(NEXT) | instid1(VALU_DEP_1)
	v_mul_f32_e64 v1, 0x2f800000, |v0|
	v_floor_f32_e32 v1, v1
	s_delay_alu instid0(VALU_DEP_1) | instskip(SKIP_1) | instid1(VALU_DEP_2)
	v_fma_f32 v1, 0xcf800000, v1, |v0|
	v_ashrrev_i32_e32 v0, 31, v0
	v_cvt_u32_f32_e32 v1, v1
	s_delay_alu instid0(VALU_DEP_1) | instskip(NEXT) | instid1(VALU_DEP_1)
	v_xor_b32_e32 v1, v1, v0
	v_sub_nc_u32_e32 v0, v1, v0
	global_store_b8 v[2:3], v0, off
.LBB23_764:
	s_branch .LBB23_856
.LBB23_765:
	s_mov_b32 s1, 0
                                        ; implicit-def: $vgpr25
	s_branch .LBB23_857
.LBB23_766:
	s_mov_b32 s0, s44
	s_branch .LBB23_813
.LBB23_767:
	s_mov_b32 s0, s44
	s_branch .LBB23_796
.LBB23_768:
	s_or_saveexec_b32 s4, s4
                                        ; implicit-def: $sgpr5
	s_delay_alu instid0(SALU_CYCLE_1)
	s_xor_b32 exec_lo, exec_lo, s4
	s_cbranch_execz .LBB23_264
.LBB23_769:
	v_add_f32_e64 v3, 0x46000000, |v25|
	s_and_not1_b32 s3, s3, exec_lo
	s_mov_b32 s5, 0
	s_delay_alu instid0(VALU_DEP_1) | instskip(NEXT) | instid1(VALU_DEP_1)
	v_and_b32_e32 v3, 0xff, v3
	v_cmp_ne_u32_e32 vcc_lo, 0, v3
	s_and_b32 s6, vcc_lo, exec_lo
	s_delay_alu instid0(SALU_CYCLE_1)
	s_or_b32 s3, s3, s6
	s_or_b32 exec_lo, exec_lo, s4
	v_mov_b32_e32 v5, s5
	s_and_saveexec_b32 s4, s3
	s_cbranch_execnz .LBB23_265
	s_branch .LBB23_266
.LBB23_770:
	s_cbranch_execnz .LBB23_779
; %bb.771:
	s_or_b32 s1, s16, exec_lo
	s_cbranch_execz .LBB23_312
	s_branch .LBB23_313
.LBB23_772:
	s_or_saveexec_b32 s3, s3
                                        ; implicit-def: $sgpr4
	s_delay_alu instid0(SALU_CYCLE_1)
	s_xor_b32 exec_lo, exec_lo, s3
	s_cbranch_execz .LBB23_43
.LBB23_773:
	v_add_f32_e64 v1, 0x46000000, |v0|
	s_and_not1_b32 s2, s2, exec_lo
	s_mov_b32 s4, 0
	s_delay_alu instid0(VALU_DEP_1) | instskip(NEXT) | instid1(VALU_DEP_1)
	v_and_b32_e32 v1, 0xff, v1
	v_cmp_ne_u32_e32 vcc_lo, 0, v1
	s_and_b32 s5, vcc_lo, exec_lo
	s_delay_alu instid0(SALU_CYCLE_1)
	s_or_b32 s2, s2, s5
	s_or_b32 exec_lo, exec_lo, s3
	v_mov_b32_e32 v5, s4
	s_and_saveexec_b32 s3, s2
	s_cbranch_execnz .LBB23_44
	s_branch .LBB23_45
.LBB23_774:
	s_mov_b32 s0, s44
	s_branch .LBB23_792
.LBB23_775:
	s_or_saveexec_b32 s3, s3
                                        ; implicit-def: $sgpr4
	s_delay_alu instid0(SALU_CYCLE_1)
	s_xor_b32 exec_lo, exec_lo, s3
	s_cbranch_execz .LBB23_277
.LBB23_776:
	v_add_f32_e64 v3, 0x42800000, |v25|
	s_and_not1_b32 s2, s2, exec_lo
	s_mov_b32 s4, 0
	s_delay_alu instid0(VALU_DEP_1) | instskip(NEXT) | instid1(VALU_DEP_1)
	v_and_b32_e32 v3, 0xff, v3
	v_cmp_ne_u32_e32 vcc_lo, 0, v3
	s_and_b32 s5, vcc_lo, exec_lo
	s_delay_alu instid0(SALU_CYCLE_1)
	s_or_b32 s2, s2, s5
	s_or_b32 exec_lo, exec_lo, s3
	v_mov_b32_e32 v5, s4
	s_and_saveexec_b32 s3, s2
	s_cbranch_execnz .LBB23_278
	s_branch .LBB23_279
.LBB23_777:
	s_or_saveexec_b32 s5, s5
                                        ; implicit-def: $sgpr6
	s_delay_alu instid0(SALU_CYCLE_1)
	s_xor_b32 exec_lo, exec_lo, s5
	s_cbranch_execz .LBB23_382
.LBB23_778:
	v_add_f32_e64 v3, 0x46000000, |v24|
	s_and_not1_b32 s4, s4, exec_lo
	s_mov_b32 s6, 0
	s_delay_alu instid0(VALU_DEP_1) | instskip(NEXT) | instid1(VALU_DEP_1)
	v_and_b32_e32 v3, 0xff, v3
	v_cmp_ne_u32_e32 vcc_lo, 0, v3
	s_and_b32 s7, vcc_lo, exec_lo
	s_delay_alu instid0(SALU_CYCLE_1)
	s_or_b32 s4, s4, s7
	s_or_b32 exec_lo, exec_lo, s5
	v_mov_b32_e32 v5, s6
	s_and_saveexec_b32 s5, s4
	s_cbranch_execnz .LBB23_383
	s_branch .LBB23_384
.LBB23_779:
	s_trap 2
	s_sendmsg_rtn_b32 s0, sendmsg(MSG_RTN_GET_DOORBELL)
	s_mov_b32 ttmp2, m0
	s_waitcnt lgkmcnt(0)
	s_and_b32 s0, s0, 0x3ff
	s_delay_alu instid0(SALU_CYCLE_1) | instskip(NEXT) | instid1(SALU_CYCLE_1)
	s_bitset1_b32 s0, 10
	s_mov_b32 m0, s0
	s_sendmsg sendmsg(MSG_INTERRUPT)
	s_mov_b32 m0, ttmp2
.LBB23_780:                             ; =>This Inner Loop Header: Depth=1
	s_sethalt 5
	s_branch .LBB23_780
.LBB23_781:
	s_cbranch_execnz .LBB23_929
; %bb.782:
	s_or_b32 s1, s1, exec_lo
	s_cbranch_execz .LBB23_430
	s_branch .LBB23_431
.LBB23_783:
	s_or_saveexec_b32 s3, s3
                                        ; implicit-def: $sgpr4
	s_delay_alu instid0(SALU_CYCLE_1)
	s_xor_b32 exec_lo, exec_lo, s3
	s_cbranch_execz .LBB23_56
.LBB23_784:
	v_add_f32_e64 v1, 0x42800000, |v0|
	s_and_not1_b32 s2, s2, exec_lo
	s_mov_b32 s4, 0
	s_delay_alu instid0(VALU_DEP_1) | instskip(NEXT) | instid1(VALU_DEP_1)
	v_and_b32_e32 v1, 0xff, v1
	v_cmp_ne_u32_e32 vcc_lo, 0, v1
	s_and_b32 s5, vcc_lo, exec_lo
	s_delay_alu instid0(SALU_CYCLE_1)
	s_or_b32 s2, s2, s5
	s_or_b32 exec_lo, exec_lo, s3
	v_mov_b32_e32 v5, s4
	s_and_saveexec_b32 s3, s2
	s_cbranch_execnz .LBB23_57
	s_branch .LBB23_58
.LBB23_785:
	s_mov_b32 s0, s44
.LBB23_786:
	s_and_b32 vcc_lo, exec_lo, s2
	s_cbranch_vccz .LBB23_791
; %bb.787:
	v_cmp_eq_u16_e32 vcc_lo, 44, v4
	s_mov_b32 s0, -1
	s_cbranch_vccz .LBB23_791
; %bb.788:
	v_bfe_u32 v5, v0, 23, 8
	v_mov_b32_e32 v1, 0xff
	s_mov_b32 s1, exec_lo
	s_delay_alu instid0(VALU_DEP_2)
	v_cmpx_ne_u32_e32 0xff, v5
; %bb.789:
	v_and_b32_e32 v1, 0x400000, v0
	v_and_or_b32 v5, 0x3fffff, v0, v5
	s_delay_alu instid0(VALU_DEP_2) | instskip(NEXT) | instid1(VALU_DEP_2)
	v_cmp_ne_u32_e32 vcc_lo, 0, v1
	v_cmp_ne_u32_e64 s0, 0, v5
	v_lshrrev_b32_e32 v1, 23, v0
	s_delay_alu instid0(VALU_DEP_2) | instskip(NEXT) | instid1(SALU_CYCLE_1)
	s_and_b32 s0, vcc_lo, s0
	v_cndmask_b32_e64 v5, 0, 1, s0
	s_delay_alu instid0(VALU_DEP_1)
	v_add_nc_u32_e32 v1, v1, v5
; %bb.790:
	s_or_b32 exec_lo, exec_lo, s1
	s_mov_b32 s1, -1
	s_mov_b32 s0, 0
	global_store_b8 v[2:3], v1, off
.LBB23_791:
	s_mov_b32 s2, 0
.LBB23_792:
	s_delay_alu instid0(SALU_CYCLE_1)
	s_and_b32 vcc_lo, exec_lo, s2
	s_cbranch_vccz .LBB23_795
; %bb.793:
	v_cmp_eq_u16_e32 vcc_lo, 29, v4
	s_mov_b32 s0, -1
	s_cbranch_vccz .LBB23_795
; %bb.794:
	v_trunc_f32_e32 v1, v0
	s_mov_b32 s1, -1
	s_mov_b32 s0, 0
	s_mov_b32 s2, 0
	s_delay_alu instid0(VALU_DEP_1) | instskip(NEXT) | instid1(VALU_DEP_1)
	v_mul_f32_e32 v5, 0x2f800000, v1
	v_floor_f32_e32 v5, v5
	s_delay_alu instid0(VALU_DEP_1) | instskip(SKIP_1) | instid1(VALU_DEP_2)
	v_fmamk_f32 v1, v5, 0xcf800000, v1
	v_cvt_u32_f32_e32 v6, v5
	v_cvt_u32_f32_e32 v5, v1
	global_store_b64 v[2:3], v[5:6], off
	s_branch .LBB23_796
.LBB23_795:
	s_mov_b32 s2, 0
.LBB23_796:
	s_delay_alu instid0(SALU_CYCLE_1)
	s_and_b32 vcc_lo, exec_lo, s2
	s_cbranch_vccz .LBB23_812
; %bb.797:
	v_cmp_gt_i16_e32 vcc_lo, 27, v4
	s_mov_b32 s1, -1
	s_cbranch_vccnz .LBB23_803
; %bb.798:
	v_cmp_lt_i16_e32 vcc_lo, 27, v4
	s_cbranch_vccz .LBB23_800
; %bb.799:
	v_cvt_u32_f32_e32 v1, v0
	s_mov_b32 s1, 0
	global_store_b32 v[2:3], v1, off
.LBB23_800:
	s_and_not1_b32 vcc_lo, exec_lo, s1
	s_cbranch_vccnz .LBB23_802
; %bb.801:
	v_cvt_u32_f32_e32 v1, v0
	global_store_b16 v[2:3], v1, off
.LBB23_802:
	s_mov_b32 s1, 0
.LBB23_803:
	s_delay_alu instid0(SALU_CYCLE_1)
	s_and_not1_b32 vcc_lo, exec_lo, s1
	s_cbranch_vccnz .LBB23_811
; %bb.804:
	v_and_b32_e32 v1, 0x7fffffff, v0
	v_mov_b32_e32 v5, 0x80
	s_mov_b32 s1, exec_lo
	s_delay_alu instid0(VALU_DEP_2)
	v_cmpx_gt_u32_e32 0x43800000, v1
	s_cbranch_execz .LBB23_810
; %bb.805:
	v_cmp_lt_u32_e32 vcc_lo, 0x3bffffff, v1
	s_mov_b32 s2, 0
                                        ; implicit-def: $vgpr1
	s_and_saveexec_b32 s3, vcc_lo
	s_delay_alu instid0(SALU_CYCLE_1)
	s_xor_b32 s3, exec_lo, s3
	s_cbranch_execz .LBB23_922
; %bb.806:
	v_bfe_u32 v1, v0, 20, 1
	s_mov_b32 s2, exec_lo
	s_delay_alu instid0(VALU_DEP_1) | instskip(NEXT) | instid1(VALU_DEP_1)
	v_add3_u32 v1, v0, v1, 0x487ffff
	v_lshrrev_b32_e32 v1, 20, v1
	s_or_saveexec_b32 s3, s3
                                        ; implicit-def: $sgpr4
	s_delay_alu instid0(SALU_CYCLE_1)
	s_xor_b32 exec_lo, exec_lo, s3
	s_cbranch_execnz .LBB23_923
.LBB23_807:
	s_or_b32 exec_lo, exec_lo, s3
	v_mov_b32_e32 v5, s4
	s_and_saveexec_b32 s3, s2
.LBB23_808:
	v_lshrrev_b32_e32 v5, 24, v0
	s_delay_alu instid0(VALU_DEP_1)
	v_and_or_b32 v5, 0x80, v5, v1
.LBB23_809:
	s_or_b32 exec_lo, exec_lo, s3
.LBB23_810:
	s_delay_alu instid0(SALU_CYCLE_1)
	s_or_b32 exec_lo, exec_lo, s1
	global_store_b8 v[2:3], v5, off
.LBB23_811:
	s_mov_b32 s1, -1
.LBB23_812:
	s_mov_b32 s2, 0
.LBB23_813:
	s_delay_alu instid0(SALU_CYCLE_1)
	s_and_b32 vcc_lo, exec_lo, s2
	s_cbranch_vccz .LBB23_854
; %bb.814:
	v_cmp_lt_i16_e32 vcc_lo, 22, v4
	s_mov_b32 s2, -1
	s_cbranch_vccz .LBB23_846
; %bb.815:
	v_cmp_gt_i16_e32 vcc_lo, 24, v4
	s_mov_b32 s1, -1
	s_cbranch_vccnz .LBB23_835
; %bb.816:
	v_cmp_lt_i16_e32 vcc_lo, 24, v4
	s_cbranch_vccz .LBB23_824
; %bb.817:
	v_and_b32_e32 v1, 0x7fffffff, v0
	v_mov_b32_e32 v5, 0x80
	s_mov_b32 s1, exec_lo
	s_delay_alu instid0(VALU_DEP_2)
	v_cmpx_gt_u32_e32 0x47800000, v1
	s_cbranch_execz .LBB23_823
; %bb.818:
	v_cmp_lt_u32_e32 vcc_lo, 0x37ffffff, v1
	s_mov_b32 s2, 0
                                        ; implicit-def: $vgpr1
	s_and_saveexec_b32 s3, vcc_lo
	s_delay_alu instid0(SALU_CYCLE_1)
	s_xor_b32 s3, exec_lo, s3
	s_cbranch_execz .LBB23_933
; %bb.819:
	v_bfe_u32 v1, v0, 21, 1
	s_mov_b32 s2, exec_lo
	s_delay_alu instid0(VALU_DEP_1) | instskip(NEXT) | instid1(VALU_DEP_1)
	v_add3_u32 v1, v0, v1, 0x88fffff
	v_lshrrev_b32_e32 v1, 21, v1
	s_or_saveexec_b32 s3, s3
                                        ; implicit-def: $sgpr4
	s_delay_alu instid0(SALU_CYCLE_1)
	s_xor_b32 exec_lo, exec_lo, s3
	s_cbranch_execnz .LBB23_934
.LBB23_820:
	s_or_b32 exec_lo, exec_lo, s3
	v_mov_b32_e32 v5, s4
	s_and_saveexec_b32 s3, s2
.LBB23_821:
	v_lshrrev_b32_e32 v5, 24, v0
	s_delay_alu instid0(VALU_DEP_1)
	v_and_or_b32 v5, 0x80, v5, v1
.LBB23_822:
	s_or_b32 exec_lo, exec_lo, s3
.LBB23_823:
	s_delay_alu instid0(SALU_CYCLE_1)
	s_or_b32 exec_lo, exec_lo, s1
	s_mov_b32 s1, 0
	global_store_b8 v[2:3], v5, off
.LBB23_824:
	s_and_b32 vcc_lo, exec_lo, s1
	s_cbranch_vccz .LBB23_834
; %bb.825:
	v_and_b32_e32 v5, 0x7fffffff, v0
	s_mov_b32 s1, exec_lo
                                        ; implicit-def: $vgpr1
	s_delay_alu instid0(VALU_DEP_1)
	v_cmpx_gt_u32_e32 0x43f00000, v5
	s_xor_b32 s1, exec_lo, s1
	s_cbranch_execz .LBB23_831
; %bb.826:
	s_mov_b32 s2, exec_lo
                                        ; implicit-def: $vgpr1
	v_cmpx_lt_u32_e32 0x3c7fffff, v5
	s_xor_b32 s2, exec_lo, s2
; %bb.827:
	v_bfe_u32 v1, v0, 20, 1
	s_delay_alu instid0(VALU_DEP_1) | instskip(NEXT) | instid1(VALU_DEP_1)
	v_add3_u32 v1, v0, v1, 0x407ffff
	v_and_b32_e32 v5, 0xff00000, v1
	v_lshrrev_b32_e32 v1, 20, v1
	s_delay_alu instid0(VALU_DEP_2) | instskip(NEXT) | instid1(VALU_DEP_2)
	v_cmp_ne_u32_e32 vcc_lo, 0x7f00000, v5
	v_cndmask_b32_e32 v1, 0x7e, v1, vcc_lo
; %bb.828:
	s_and_not1_saveexec_b32 s2, s2
; %bb.829:
	v_add_f32_e64 v1, 0x46800000, |v0|
; %bb.830:
	s_or_b32 exec_lo, exec_lo, s2
                                        ; implicit-def: $vgpr5
.LBB23_831:
	s_and_not1_saveexec_b32 s1, s1
; %bb.832:
	v_mov_b32_e32 v1, 0x7f
	v_cmp_lt_u32_e32 vcc_lo, 0x7f800000, v5
	s_delay_alu instid0(VALU_DEP_2)
	v_cndmask_b32_e32 v1, 0x7e, v1, vcc_lo
; %bb.833:
	s_or_b32 exec_lo, exec_lo, s1
	v_lshrrev_b32_e32 v5, 24, v0
	s_delay_alu instid0(VALU_DEP_1)
	v_and_or_b32 v1, 0x80, v5, v1
	global_store_b8 v[2:3], v1, off
.LBB23_834:
	s_mov_b32 s1, 0
.LBB23_835:
	s_delay_alu instid0(SALU_CYCLE_1)
	s_and_not1_b32 vcc_lo, exec_lo, s1
	s_cbranch_vccnz .LBB23_845
; %bb.836:
	v_and_b32_e32 v5, 0x7fffffff, v0
	s_mov_b32 s1, exec_lo
                                        ; implicit-def: $vgpr1
	s_delay_alu instid0(VALU_DEP_1)
	v_cmpx_gt_u32_e32 0x47800000, v5
	s_xor_b32 s1, exec_lo, s1
	s_cbranch_execz .LBB23_842
; %bb.837:
	s_mov_b32 s2, exec_lo
                                        ; implicit-def: $vgpr1
	v_cmpx_lt_u32_e32 0x387fffff, v5
	s_xor_b32 s2, exec_lo, s2
; %bb.838:
	v_bfe_u32 v1, v0, 21, 1
	s_delay_alu instid0(VALU_DEP_1) | instskip(NEXT) | instid1(VALU_DEP_1)
	v_add3_u32 v1, v0, v1, 0x80fffff
	v_lshrrev_b32_e32 v1, 21, v1
; %bb.839:
	s_and_not1_saveexec_b32 s2, s2
; %bb.840:
	v_add_f32_e64 v1, 0x43000000, |v0|
; %bb.841:
	s_or_b32 exec_lo, exec_lo, s2
                                        ; implicit-def: $vgpr5
.LBB23_842:
	s_and_not1_saveexec_b32 s1, s1
; %bb.843:
	v_mov_b32_e32 v1, 0x7f
	v_cmp_lt_u32_e32 vcc_lo, 0x7f800000, v5
	s_delay_alu instid0(VALU_DEP_2)
	v_cndmask_b32_e32 v1, 0x7c, v1, vcc_lo
; %bb.844:
	s_or_b32 exec_lo, exec_lo, s1
	v_lshrrev_b32_e32 v5, 24, v0
	s_delay_alu instid0(VALU_DEP_1)
	v_and_or_b32 v1, 0x80, v5, v1
	global_store_b8 v[2:3], v1, off
.LBB23_845:
	s_mov_b32 s2, 0
	s_mov_b32 s1, -1
.LBB23_846:
	s_and_not1_b32 vcc_lo, exec_lo, s2
	s_cbranch_vccnz .LBB23_854
; %bb.847:
	v_cmp_lt_i16_e32 vcc_lo, 14, v4
	s_mov_b32 s2, -1
	s_cbranch_vccz .LBB23_851
; %bb.848:
	v_cmp_eq_u16_e32 vcc_lo, 15, v4
	s_mov_b32 s0, -1
	s_cbranch_vccz .LBB23_850
; %bb.849:
	v_bfe_u32 v1, v0, 16, 1
	v_cmp_o_f32_e32 vcc_lo, v0, v0
	s_mov_b32 s1, -1
	s_mov_b32 s0, 0
	s_delay_alu instid0(VALU_DEP_2) | instskip(NEXT) | instid1(VALU_DEP_1)
	v_add3_u32 v1, v0, v1, 0x7fff
	v_lshrrev_b32_e32 v1, 16, v1
	s_delay_alu instid0(VALU_DEP_1)
	v_cndmask_b32_e32 v1, 0x7fc0, v1, vcc_lo
	global_store_b16 v[2:3], v1, off
.LBB23_850:
	s_mov_b32 s2, 0
.LBB23_851:
	s_delay_alu instid0(SALU_CYCLE_1)
	s_and_b32 vcc_lo, exec_lo, s2
	s_cbranch_vccz .LBB23_854
; %bb.852:
	v_cmp_eq_u16_e32 vcc_lo, 11, v4
	s_mov_b32 s0, -1
	s_cbranch_vccz .LBB23_854
; %bb.853:
	v_cmp_neq_f32_e32 vcc_lo, 0, v0
	s_mov_b32 s0, 0
	s_mov_b32 s1, -1
	v_cndmask_b32_e64 v1, 0, 1, vcc_lo
	global_store_b8 v[2:3], v1, off
.LBB23_854:
.LBB23_855:
	s_and_not1_b32 vcc_lo, exec_lo, s1
	s_cbranch_vccnz .LBB23_765
.LBB23_856:
	v_add_nc_u32_e32 v25, 0x80, v25
	s_mov_b32 s1, -1
.LBB23_857:
	s_and_not1_b32 s2, s44, exec_lo
	s_and_b32 s0, s0, exec_lo
	s_delay_alu instid0(SALU_CYCLE_1)
	s_or_b32 s46, s2, s0
	s_or_not1_b32 s2, s1, exec_lo
.LBB23_858:
	s_or_b32 exec_lo, exec_lo, s47
	s_mov_b32 s0, 0
	s_mov_b32 s1, 0
                                        ; implicit-def: $vgpr4
                                        ; implicit-def: $vgpr2_vgpr3
                                        ; implicit-def: $vgpr0
	s_and_saveexec_b32 s47, s2
	s_cbranch_execz .LBB23_1101
; %bb.859:
	s_mov_b32 s2, -1
	s_mov_b32 s49, s46
	s_mov_b32 s48, exec_lo
	v_cmpx_gt_i32_e64 s41, v25
	s_cbranch_execz .LBB23_1008
; %bb.860:
	s_and_not1_b32 vcc_lo, exec_lo, s38
	s_cbranch_vccnz .LBB23_865
; %bb.861:
	v_mov_b32_e32 v24, 0
	v_mov_b32_e32 v2, 0
	s_and_not1_b32 vcc_lo, exec_lo, s43
	s_mov_b32 s4, 0
	s_cbranch_vccnz .LBB23_870
; %bb.862:
	v_mov_b32_e32 v24, 0
	s_add_i32 s6, s42, 1
	s_cmp_eq_u32 s36, 2
	s_mov_b32 s5, 0
	s_cbranch_scc1 .LBB23_866
; %bb.863:
	v_mov_b32_e32 v2, 0
	v_mov_b32_e32 v24, 0
	;; [unrolled: 1-line block ×3, first 2 shown]
	s_and_b32 s5, s6, 28
	s_mov_b32 s7, 0
	s_mov_b64 s[0:1], s[34:35]
	s_mov_b64 s[2:3], s[14:15]
.LBB23_864:                             ; =>This Inner Loop Header: Depth=1
	s_clause 0x1
	s_load_b256 s[52:59], s[2:3], 0x4
	s_load_b128 s[8:11], s[2:3], 0x24
	s_load_b256 s[60:67], s[0:1], 0x0
	s_add_u32 s2, s2, 48
	s_addc_u32 s3, s3, 0
	s_add_i32 s7, s7, 4
	s_add_u32 s0, s0, 32
	s_addc_u32 s1, s1, 0
	s_cmp_eq_u32 s5, s7
	s_waitcnt lgkmcnt(0)
	v_mul_hi_u32 v1, s53, v0
	s_delay_alu instid0(VALU_DEP_1) | instskip(NEXT) | instid1(VALU_DEP_1)
	v_add_nc_u32_e32 v1, v0, v1
	v_lshrrev_b32_e32 v1, s54, v1
	s_delay_alu instid0(VALU_DEP_1) | instskip(SKIP_1) | instid1(VALU_DEP_2)
	v_mul_hi_u32 v3, s56, v1
	v_mul_lo_u32 v5, v1, s52
	v_add_nc_u32_e32 v3, v1, v3
	s_delay_alu instid0(VALU_DEP_2) | instskip(NEXT) | instid1(VALU_DEP_2)
	v_sub_nc_u32_e32 v0, v0, v5
	v_lshrrev_b32_e32 v3, s57, v3
	s_delay_alu instid0(VALU_DEP_2) | instskip(SKIP_1) | instid1(VALU_DEP_3)
	v_mul_lo_u32 v5, v0, s60
	v_mul_lo_u32 v7, v0, s61
	v_mul_hi_u32 v4, s59, v3
	s_delay_alu instid0(VALU_DEP_1) | instskip(NEXT) | instid1(VALU_DEP_1)
	v_add_nc_u32_e32 v4, v3, v4
	v_lshrrev_b32_e32 v4, s8, v4
	s_delay_alu instid0(VALU_DEP_1) | instskip(SKIP_1) | instid1(VALU_DEP_2)
	v_mul_hi_u32 v6, s10, v4
	v_mul_lo_u32 v8, v4, s58
	v_add_nc_u32_e32 v0, v4, v6
	v_mul_lo_u32 v6, v3, s55
	s_delay_alu instid0(VALU_DEP_3) | instskip(NEXT) | instid1(VALU_DEP_3)
	v_sub_nc_u32_e32 v3, v3, v8
	v_lshrrev_b32_e32 v0, s11, v0
	s_delay_alu instid0(VALU_DEP_2) | instskip(SKIP_2) | instid1(VALU_DEP_4)
	v_mul_lo_u32 v8, v3, s64
	v_mul_lo_u32 v3, v3, s65
	v_sub_nc_u32_e32 v1, v1, v6
	v_mul_lo_u32 v9, v0, s9
	s_delay_alu instid0(VALU_DEP_2) | instskip(SKIP_1) | instid1(VALU_DEP_3)
	v_mul_lo_u32 v6, v1, s62
	v_mul_lo_u32 v1, v1, s63
	v_sub_nc_u32_e32 v4, v4, v9
	s_delay_alu instid0(VALU_DEP_3) | instskip(NEXT) | instid1(VALU_DEP_2)
	v_add3_u32 v5, v5, v24, v6
	v_mul_lo_u32 v9, v4, s66
	v_mul_lo_u32 v4, v4, s67
	v_add3_u32 v1, v7, v2, v1
	s_delay_alu instid0(VALU_DEP_3) | instskip(NEXT) | instid1(VALU_DEP_2)
	v_add3_u32 v24, v8, v5, v9
	v_add3_u32 v2, v3, v1, v4
	s_cbranch_scc0 .LBB23_864
	s_branch .LBB23_867
.LBB23_865:
	s_mov_b32 s4, -1
                                        ; implicit-def: $vgpr24
                                        ; implicit-def: $vgpr2
	s_branch .LBB23_870
.LBB23_866:
	v_mov_b32_e32 v0, v25
	v_mov_b32_e32 v2, 0
.LBB23_867:
	s_and_b32 s6, s6, 3
	s_delay_alu instid0(SALU_CYCLE_1)
	s_cmp_eq_u32 s6, 0
	s_cbranch_scc1 .LBB23_870
; %bb.868:
	s_lshl_b32 s0, s5, 3
	s_mul_i32 s2, s5, 12
	s_add_u32 s0, s0, s14
	s_addc_u32 s1, s15, 0
	s_add_u32 s0, s0, 0xc4
	s_addc_u32 s1, s1, 0
	;; [unrolled: 2-line block ×3, first 2 shown]
	.p2align	6
.LBB23_869:                             ; =>This Inner Loop Header: Depth=1
	s_clause 0x1
	s_load_b64 s[8:9], s[2:3], 0x4
	s_load_b32 s5, s[2:3], 0xc
	s_load_b64 s[10:11], s[0:1], 0x0
	s_add_u32 s2, s2, 12
	s_addc_u32 s3, s3, 0
	s_add_u32 s0, s0, 8
	s_addc_u32 s1, s1, 0
	s_add_i32 s6, s6, -1
	s_delay_alu instid0(SALU_CYCLE_1) | instskip(SKIP_2) | instid1(VALU_DEP_1)
	s_cmp_lg_u32 s6, 0
	s_waitcnt lgkmcnt(0)
	v_mul_hi_u32 v1, s9, v0
	v_add_nc_u32_e32 v1, v0, v1
	s_delay_alu instid0(VALU_DEP_1) | instskip(NEXT) | instid1(VALU_DEP_1)
	v_lshrrev_b32_e32 v1, s5, v1
	v_mul_lo_u32 v3, v1, s8
	s_delay_alu instid0(VALU_DEP_1) | instskip(NEXT) | instid1(VALU_DEP_1)
	v_sub_nc_u32_e32 v0, v0, v3
	v_mad_u64_u32 v[3:4], null, v0, s10, v[24:25]
	s_delay_alu instid0(VALU_DEP_1) | instskip(SKIP_2) | instid1(VALU_DEP_2)
	v_mov_b32_e32 v24, v3
	v_mad_u64_u32 v[4:5], null, v0, s11, v[2:3]
	v_mov_b32_e32 v0, v1
	v_mov_b32_e32 v2, v4
	s_cbranch_scc1 .LBB23_869
.LBB23_870:
	s_and_not1_b32 vcc_lo, exec_lo, s4
	s_cbranch_vccnz .LBB23_873
; %bb.871:
	s_waitcnt lgkmcnt(0)
	v_mul_hi_u32 v0, s25, v25
	s_and_not1_b32 vcc_lo, exec_lo, s40
	s_delay_alu instid0(VALU_DEP_1) | instskip(NEXT) | instid1(VALU_DEP_1)
	v_add_nc_u32_e32 v0, v25, v0
	v_lshrrev_b32_e32 v0, s26, v0
	s_delay_alu instid0(VALU_DEP_1) | instskip(NEXT) | instid1(VALU_DEP_1)
	v_mul_lo_u32 v1, v0, s24
	v_sub_nc_u32_e32 v1, v25, v1
	s_delay_alu instid0(VALU_DEP_1)
	v_mul_lo_u32 v24, v1, s20
	v_mul_lo_u32 v2, v1, s21
	s_cbranch_vccnz .LBB23_873
; %bb.872:
	v_mul_hi_u32 v1, s28, v0
	s_delay_alu instid0(VALU_DEP_1) | instskip(NEXT) | instid1(VALU_DEP_1)
	v_add_nc_u32_e32 v1, v0, v1
	v_lshrrev_b32_e32 v1, s29, v1
	s_delay_alu instid0(VALU_DEP_1) | instskip(NEXT) | instid1(VALU_DEP_1)
	v_mul_lo_u32 v1, v1, s27
	v_sub_nc_u32_e32 v5, v0, v1
	s_delay_alu instid0(VALU_DEP_1) | instskip(SKIP_1) | instid1(VALU_DEP_2)
	v_mad_u64_u32 v[0:1], null, v5, s22, v[24:25]
	v_mad_u64_u32 v[3:4], null, v5, s23, v[2:3]
	v_mov_b32_e32 v24, v0
	s_delay_alu instid0(VALU_DEP_2)
	v_mov_b32_e32 v2, v3
.LBB23_873:
	s_waitcnt lgkmcnt(0)
	v_dual_mov_b32 v0, s18 :: v_dual_mov_b32 v1, s19
	v_mov_b32_e32 v3, v23
	s_getpc_b64 s[0:1]
	s_add_u32 s0, s0, _ZN2at6native6invokeIZZZNS0_12_GLOBAL__N_130modified_bessel_k0_kernel_cudaERNS_18TensorIteratorBaseEENKUlvE_clEvENKUlvE0_clEvEUlfE_j15function_traitsIS7_EEENT1_11result_typeERKT_PrKPcPKT0_PKN3c1010ScalarTypeEi@rel32@lo+4
	s_addc_u32 s1, s1, _ZN2at6native6invokeIZZZNS0_12_GLOBAL__N_130modified_bessel_k0_kernel_cudaERNS_18TensorIteratorBaseEENKUlvE_clEvENKUlvE0_clEvEUlfE_j15function_traitsIS7_EEENT1_11result_typeERKT_PrKPcPKT0_PKN3c1010ScalarTypeEi@rel32@hi+12
	s_delay_alu instid0(SALU_CYCLE_1) | instskip(SKIP_2) | instid1(VALU_DEP_1)
	s_swappc_b64 s[30:31], s[0:1]
	v_and_b32_e32 v4, 0xff, v26
	v_add_co_u32 v2, s0, s16, v24
	v_add_co_ci_u32_e64 v3, null, s17, 0, s0
	s_delay_alu instid0(VALU_DEP_3)
	v_cmp_gt_i16_e32 vcc_lo, 11, v4
	s_mov_b32 s1, 0
	s_mov_b32 s2, -1
	s_mov_b32 s0, s46
	s_cbranch_vccnz .LBB23_880
; %bb.874:
	v_cmp_lt_i16_e32 vcc_lo, 25, v4
	s_cbranch_vccz .LBB23_920
; %bb.875:
	v_cmp_lt_i16_e32 vcc_lo, 28, v4
	s_cbranch_vccz .LBB23_921
	;; [unrolled: 3-line block ×4, first 2 shown]
; %bb.878:
	v_cmp_eq_u16_e32 vcc_lo, 46, v4
	s_mov_b32 s2, 0
	s_mov_b32 s0, -1
	s_cbranch_vccz .LBB23_936
; %bb.879:
	v_bfe_u32 v1, v0, 16, 1
	v_cmp_o_f32_e32 vcc_lo, v0, v0
	s_mov_b32 s1, -1
	s_mov_b32 s0, 0
	s_delay_alu instid0(VALU_DEP_2) | instskip(NEXT) | instid1(VALU_DEP_1)
	v_add3_u32 v1, v0, v1, 0x7fff
	v_lshrrev_b32_e32 v1, 16, v1
	s_delay_alu instid0(VALU_DEP_1)
	v_cndmask_b32_e32 v1, 0x7fc0, v1, vcc_lo
	global_store_b32 v[2:3], v1, off
	s_branch .LBB23_936
.LBB23_880:
	s_and_b32 vcc_lo, exec_lo, s2
	s_cbranch_vccz .LBB23_1005
; %bb.881:
	v_cmp_gt_i16_e32 vcc_lo, 5, v4
	s_mov_b32 s1, -1
	s_cbranch_vccnz .LBB23_902
; %bb.882:
	v_cmp_gt_i16_e32 vcc_lo, 8, v4
	s_cbranch_vccnz .LBB23_892
; %bb.883:
	v_cmp_gt_i16_e32 vcc_lo, 9, v4
	s_cbranch_vccnz .LBB23_889
; %bb.884:
	v_cmp_lt_i16_e32 vcc_lo, 9, v4
	s_cbranch_vccz .LBB23_886
; %bb.885:
	v_cvt_f64_f32_e32 v[5:6], v0
	v_mov_b32_e32 v7, 0
	s_mov_b32 s1, 0
	s_delay_alu instid0(VALU_DEP_1)
	v_mov_b32_e32 v8, v7
	global_store_b128 v[2:3], v[5:8], off
.LBB23_886:
	s_and_not1_b32 vcc_lo, exec_lo, s1
	s_cbranch_vccnz .LBB23_888
; %bb.887:
	v_mov_b32_e32 v1, 0
	global_store_b64 v[2:3], v[0:1], off
.LBB23_888:
	s_mov_b32 s1, 0
.LBB23_889:
	s_delay_alu instid0(SALU_CYCLE_1)
	s_and_not1_b32 vcc_lo, exec_lo, s1
	s_cbranch_vccnz .LBB23_891
; %bb.890:
	v_cvt_f16_f32_e32 v1, v0
	s_delay_alu instid0(VALU_DEP_1)
	v_and_b32_e32 v1, 0xffff, v1
	global_store_b32 v[2:3], v1, off
.LBB23_891:
	s_mov_b32 s1, 0
.LBB23_892:
	s_delay_alu instid0(SALU_CYCLE_1)
	s_and_not1_b32 vcc_lo, exec_lo, s1
	s_cbranch_vccnz .LBB23_901
; %bb.893:
	v_cmp_gt_i16_e32 vcc_lo, 6, v4
	s_mov_b32 s1, -1
	s_cbranch_vccnz .LBB23_899
; %bb.894:
	v_cmp_lt_i16_e32 vcc_lo, 6, v4
	s_cbranch_vccz .LBB23_896
; %bb.895:
	v_cvt_f64_f32_e32 v[5:6], v0
	s_mov_b32 s1, 0
	global_store_b64 v[2:3], v[5:6], off
.LBB23_896:
	s_and_not1_b32 vcc_lo, exec_lo, s1
	s_cbranch_vccnz .LBB23_898
; %bb.897:
	global_store_b32 v[2:3], v0, off
.LBB23_898:
	s_mov_b32 s1, 0
.LBB23_899:
	s_delay_alu instid0(SALU_CYCLE_1)
	s_and_not1_b32 vcc_lo, exec_lo, s1
	s_cbranch_vccnz .LBB23_901
; %bb.900:
	v_cvt_f16_f32_e32 v1, v0
	global_store_b16 v[2:3], v1, off
.LBB23_901:
	s_mov_b32 s1, 0
.LBB23_902:
	s_delay_alu instid0(SALU_CYCLE_1)
	s_and_not1_b32 vcc_lo, exec_lo, s1
	s_cbranch_vccnz .LBB23_918
; %bb.903:
	v_cmp_gt_i16_e32 vcc_lo, 2, v4
	s_mov_b32 s1, -1
	s_cbranch_vccnz .LBB23_913
; %bb.904:
	v_cmp_gt_i16_e32 vcc_lo, 3, v4
	s_cbranch_vccnz .LBB23_910
; %bb.905:
	v_cmp_lt_i16_e32 vcc_lo, 3, v4
	s_cbranch_vccz .LBB23_907
; %bb.906:
	v_trunc_f32_e32 v1, v0
	s_mov_b32 s1, 0
	s_delay_alu instid0(VALU_DEP_1) | instskip(NEXT) | instid1(VALU_DEP_1)
	v_mul_f32_e64 v5, 0x2f800000, |v1|
	v_floor_f32_e32 v5, v5
	s_delay_alu instid0(VALU_DEP_1) | instskip(SKIP_2) | instid1(VALU_DEP_3)
	v_fma_f32 v6, 0xcf800000, v5, |v1|
	v_ashrrev_i32_e32 v1, 31, v1
	v_cvt_u32_f32_e32 v5, v5
	v_cvt_u32_f32_e32 v6, v6
	s_delay_alu instid0(VALU_DEP_2) | instskip(NEXT) | instid1(VALU_DEP_2)
	v_xor_b32_e32 v7, v5, v1
	v_xor_b32_e32 v6, v6, v1
	s_delay_alu instid0(VALU_DEP_1) | instskip(NEXT) | instid1(VALU_DEP_3)
	v_sub_co_u32 v5, vcc_lo, v6, v1
	v_sub_co_ci_u32_e32 v6, vcc_lo, v7, v1, vcc_lo
	global_store_b64 v[2:3], v[5:6], off
.LBB23_907:
	s_and_not1_b32 vcc_lo, exec_lo, s1
	s_cbranch_vccnz .LBB23_909
; %bb.908:
	v_cvt_i32_f32_e32 v1, v0
	global_store_b32 v[2:3], v1, off
.LBB23_909:
	s_mov_b32 s1, 0
.LBB23_910:
	s_delay_alu instid0(SALU_CYCLE_1)
	s_and_not1_b32 vcc_lo, exec_lo, s1
	s_cbranch_vccnz .LBB23_912
; %bb.911:
	v_cvt_i32_f32_e32 v1, v0
	global_store_b16 v[2:3], v1, off
.LBB23_912:
	s_mov_b32 s1, 0
.LBB23_913:
	s_delay_alu instid0(SALU_CYCLE_1)
	s_and_not1_b32 vcc_lo, exec_lo, s1
	s_cbranch_vccnz .LBB23_918
; %bb.914:
	v_cmp_lt_i16_e32 vcc_lo, 0, v4
	s_mov_b32 s1, -1
	s_cbranch_vccz .LBB23_916
; %bb.915:
	v_cvt_i32_f32_e32 v1, v0
	s_mov_b32 s1, 0
	global_store_b8 v[2:3], v1, off
.LBB23_916:
	s_and_not1_b32 vcc_lo, exec_lo, s1
	s_cbranch_vccnz .LBB23_918
; %bb.917:
	v_trunc_f32_e32 v0, v0
	s_delay_alu instid0(VALU_DEP_1) | instskip(NEXT) | instid1(VALU_DEP_1)
	v_mul_f32_e64 v1, 0x2f800000, |v0|
	v_floor_f32_e32 v1, v1
	s_delay_alu instid0(VALU_DEP_1) | instskip(SKIP_1) | instid1(VALU_DEP_2)
	v_fma_f32 v1, 0xcf800000, v1, |v0|
	v_ashrrev_i32_e32 v0, 31, v0
	v_cvt_u32_f32_e32 v1, v1
	s_delay_alu instid0(VALU_DEP_1) | instskip(NEXT) | instid1(VALU_DEP_1)
	v_xor_b32_e32 v1, v1, v0
	v_sub_nc_u32_e32 v0, v1, v0
	global_store_b8 v[2:3], v0, off
.LBB23_918:
	s_branch .LBB23_1006
.LBB23_919:
	s_mov_b32 s1, 0
                                        ; implicit-def: $vgpr25
	s_branch .LBB23_1007
.LBB23_920:
	s_mov_b32 s0, s46
	s_branch .LBB23_963
.LBB23_921:
	s_mov_b32 s0, s46
	s_branch .LBB23_946
.LBB23_922:
	s_or_saveexec_b32 s3, s3
                                        ; implicit-def: $sgpr4
	s_delay_alu instid0(SALU_CYCLE_1)
	s_xor_b32 exec_lo, exec_lo, s3
	s_cbranch_execz .LBB23_807
.LBB23_923:
	v_add_f32_e64 v1, 0x46000000, |v0|
	s_and_not1_b32 s2, s2, exec_lo
	s_mov_b32 s4, 0
	s_delay_alu instid0(VALU_DEP_1) | instskip(NEXT) | instid1(VALU_DEP_1)
	v_and_b32_e32 v1, 0xff, v1
	v_cmp_ne_u32_e32 vcc_lo, 0, v1
	s_and_b32 s5, vcc_lo, exec_lo
	s_delay_alu instid0(SALU_CYCLE_1)
	s_or_b32 s2, s2, s5
	s_or_b32 exec_lo, exec_lo, s3
	v_mov_b32_e32 v5, s4
	s_and_saveexec_b32 s3, s2
	s_cbranch_execnz .LBB23_808
	s_branch .LBB23_809
.LBB23_924:
	s_mov_b32 s0, s46
	s_branch .LBB23_942
.LBB23_925:
	s_or_saveexec_b32 s4, s4
                                        ; implicit-def: $sgpr5
	s_delay_alu instid0(SALU_CYCLE_1)
	s_xor_b32 exec_lo, exec_lo, s4
	s_cbranch_execz .LBB23_395
.LBB23_926:
	v_add_f32_e64 v3, 0x42800000, |v24|
	s_and_not1_b32 s3, s3, exec_lo
	s_mov_b32 s5, 0
	s_delay_alu instid0(VALU_DEP_1) | instskip(NEXT) | instid1(VALU_DEP_1)
	v_and_b32_e32 v3, 0xff, v3
	v_cmp_ne_u32_e32 vcc_lo, 0, v3
	s_and_b32 s6, vcc_lo, exec_lo
	s_delay_alu instid0(SALU_CYCLE_1)
	s_or_b32 s3, s3, s6
	s_or_b32 exec_lo, exec_lo, s4
	v_mov_b32_e32 v5, s5
	s_and_saveexec_b32 s4, s3
	s_cbranch_execnz .LBB23_396
	s_branch .LBB23_397
.LBB23_927:
	s_or_saveexec_b32 s5, s5
                                        ; implicit-def: $sgpr6
	s_delay_alu instid0(SALU_CYCLE_1)
	s_xor_b32 exec_lo, exec_lo, s5
	s_cbranch_execz .LBB23_500
.LBB23_928:
	v_add_f32_e64 v3, 0x46000000, |v23|
	s_and_not1_b32 s4, s4, exec_lo
	s_mov_b32 s6, 0
	s_delay_alu instid0(VALU_DEP_1) | instskip(NEXT) | instid1(VALU_DEP_1)
	v_and_b32_e32 v3, 0xff, v3
	v_cmp_ne_u32_e32 vcc_lo, 0, v3
	s_and_b32 s7, vcc_lo, exec_lo
	s_delay_alu instid0(SALU_CYCLE_1)
	s_or_b32 s4, s4, s7
	s_or_b32 exec_lo, exec_lo, s5
	v_mov_b32_e32 v5, s6
	s_and_saveexec_b32 s5, s4
	s_cbranch_execnz .LBB23_501
	s_branch .LBB23_502
.LBB23_929:
	s_trap 2
	s_sendmsg_rtn_b32 s0, sendmsg(MSG_RTN_GET_DOORBELL)
	s_mov_b32 ttmp2, m0
	s_waitcnt lgkmcnt(0)
	s_and_b32 s0, s0, 0x3ff
	s_delay_alu instid0(SALU_CYCLE_1) | instskip(NEXT) | instid1(SALU_CYCLE_1)
	s_bitset1_b32 s0, 10
	s_mov_b32 m0, s0
	s_sendmsg sendmsg(MSG_INTERRUPT)
	s_mov_b32 m0, ttmp2
.LBB23_930:                             ; =>This Inner Loop Header: Depth=1
	s_sethalt 5
	s_branch .LBB23_930
.LBB23_931:
	s_cbranch_execnz .LBB23_1112
; %bb.932:
	s_or_b32 s1, s1, exec_lo
	s_cbranch_execz .LBB23_548
	s_branch .LBB23_549
.LBB23_933:
	s_or_saveexec_b32 s3, s3
                                        ; implicit-def: $sgpr4
	s_delay_alu instid0(SALU_CYCLE_1)
	s_xor_b32 exec_lo, exec_lo, s3
	s_cbranch_execz .LBB23_820
.LBB23_934:
	v_add_f32_e64 v1, 0x42800000, |v0|
	s_and_not1_b32 s2, s2, exec_lo
	s_mov_b32 s4, 0
	s_delay_alu instid0(VALU_DEP_1) | instskip(NEXT) | instid1(VALU_DEP_1)
	v_and_b32_e32 v1, 0xff, v1
	v_cmp_ne_u32_e32 vcc_lo, 0, v1
	s_and_b32 s5, vcc_lo, exec_lo
	s_delay_alu instid0(SALU_CYCLE_1)
	s_or_b32 s2, s2, s5
	s_or_b32 exec_lo, exec_lo, s3
	v_mov_b32_e32 v5, s4
	s_and_saveexec_b32 s3, s2
	s_cbranch_execnz .LBB23_821
	s_branch .LBB23_822
.LBB23_935:
	s_mov_b32 s0, s46
.LBB23_936:
	s_and_b32 vcc_lo, exec_lo, s2
	s_cbranch_vccz .LBB23_941
; %bb.937:
	v_cmp_eq_u16_e32 vcc_lo, 44, v4
	s_mov_b32 s0, -1
	s_cbranch_vccz .LBB23_941
; %bb.938:
	v_bfe_u32 v5, v0, 23, 8
	v_mov_b32_e32 v1, 0xff
	s_mov_b32 s1, exec_lo
	s_delay_alu instid0(VALU_DEP_2)
	v_cmpx_ne_u32_e32 0xff, v5
; %bb.939:
	v_and_b32_e32 v1, 0x400000, v0
	v_and_or_b32 v5, 0x3fffff, v0, v5
	s_delay_alu instid0(VALU_DEP_2) | instskip(NEXT) | instid1(VALU_DEP_2)
	v_cmp_ne_u32_e32 vcc_lo, 0, v1
	v_cmp_ne_u32_e64 s0, 0, v5
	v_lshrrev_b32_e32 v1, 23, v0
	s_delay_alu instid0(VALU_DEP_2) | instskip(NEXT) | instid1(SALU_CYCLE_1)
	s_and_b32 s0, vcc_lo, s0
	v_cndmask_b32_e64 v5, 0, 1, s0
	s_delay_alu instid0(VALU_DEP_1)
	v_add_nc_u32_e32 v1, v1, v5
; %bb.940:
	s_or_b32 exec_lo, exec_lo, s1
	s_mov_b32 s1, -1
	s_mov_b32 s0, 0
	global_store_b8 v[2:3], v1, off
.LBB23_941:
	s_mov_b32 s2, 0
.LBB23_942:
	s_delay_alu instid0(SALU_CYCLE_1)
	s_and_b32 vcc_lo, exec_lo, s2
	s_cbranch_vccz .LBB23_945
; %bb.943:
	v_cmp_eq_u16_e32 vcc_lo, 29, v4
	s_mov_b32 s0, -1
	s_cbranch_vccz .LBB23_945
; %bb.944:
	v_trunc_f32_e32 v1, v0
	s_mov_b32 s1, -1
	s_mov_b32 s0, 0
	s_mov_b32 s2, 0
	s_delay_alu instid0(VALU_DEP_1) | instskip(NEXT) | instid1(VALU_DEP_1)
	v_mul_f32_e32 v5, 0x2f800000, v1
	v_floor_f32_e32 v5, v5
	s_delay_alu instid0(VALU_DEP_1) | instskip(SKIP_1) | instid1(VALU_DEP_2)
	v_fmamk_f32 v1, v5, 0xcf800000, v1
	v_cvt_u32_f32_e32 v6, v5
	v_cvt_u32_f32_e32 v5, v1
	global_store_b64 v[2:3], v[5:6], off
	s_branch .LBB23_946
.LBB23_945:
	s_mov_b32 s2, 0
.LBB23_946:
	s_delay_alu instid0(SALU_CYCLE_1)
	s_and_b32 vcc_lo, exec_lo, s2
	s_cbranch_vccz .LBB23_962
; %bb.947:
	v_cmp_gt_i16_e32 vcc_lo, 27, v4
	s_mov_b32 s1, -1
	s_cbranch_vccnz .LBB23_953
; %bb.948:
	v_cmp_lt_i16_e32 vcc_lo, 27, v4
	s_cbranch_vccz .LBB23_950
; %bb.949:
	v_cvt_u32_f32_e32 v1, v0
	s_mov_b32 s1, 0
	global_store_b32 v[2:3], v1, off
.LBB23_950:
	s_and_not1_b32 vcc_lo, exec_lo, s1
	s_cbranch_vccnz .LBB23_952
; %bb.951:
	v_cvt_u32_f32_e32 v1, v0
	global_store_b16 v[2:3], v1, off
.LBB23_952:
	s_mov_b32 s1, 0
.LBB23_953:
	s_delay_alu instid0(SALU_CYCLE_1)
	s_and_not1_b32 vcc_lo, exec_lo, s1
	s_cbranch_vccnz .LBB23_961
; %bb.954:
	v_and_b32_e32 v1, 0x7fffffff, v0
	v_mov_b32_e32 v5, 0x80
	s_mov_b32 s1, exec_lo
	s_delay_alu instid0(VALU_DEP_2)
	v_cmpx_gt_u32_e32 0x43800000, v1
	s_cbranch_execz .LBB23_960
; %bb.955:
	v_cmp_lt_u32_e32 vcc_lo, 0x3bffffff, v1
	s_mov_b32 s2, 0
                                        ; implicit-def: $vgpr1
	s_and_saveexec_b32 s3, vcc_lo
	s_delay_alu instid0(SALU_CYCLE_1)
	s_xor_b32 s3, exec_lo, s3
	s_cbranch_execz .LBB23_1106
; %bb.956:
	v_bfe_u32 v1, v0, 20, 1
	s_mov_b32 s2, exec_lo
	s_delay_alu instid0(VALU_DEP_1) | instskip(NEXT) | instid1(VALU_DEP_1)
	v_add3_u32 v1, v0, v1, 0x487ffff
	v_lshrrev_b32_e32 v1, 20, v1
	s_or_saveexec_b32 s3, s3
                                        ; implicit-def: $sgpr4
	s_delay_alu instid0(SALU_CYCLE_1)
	s_xor_b32 exec_lo, exec_lo, s3
	s_cbranch_execnz .LBB23_1107
.LBB23_957:
	s_or_b32 exec_lo, exec_lo, s3
	v_mov_b32_e32 v5, s4
	s_and_saveexec_b32 s3, s2
.LBB23_958:
	v_lshrrev_b32_e32 v5, 24, v0
	s_delay_alu instid0(VALU_DEP_1)
	v_and_or_b32 v5, 0x80, v5, v1
.LBB23_959:
	s_or_b32 exec_lo, exec_lo, s3
.LBB23_960:
	s_delay_alu instid0(SALU_CYCLE_1)
	s_or_b32 exec_lo, exec_lo, s1
	global_store_b8 v[2:3], v5, off
.LBB23_961:
	s_mov_b32 s1, -1
.LBB23_962:
	s_mov_b32 s2, 0
.LBB23_963:
	s_delay_alu instid0(SALU_CYCLE_1)
	s_and_b32 vcc_lo, exec_lo, s2
	s_cbranch_vccz .LBB23_1004
; %bb.964:
	v_cmp_lt_i16_e32 vcc_lo, 22, v4
	s_mov_b32 s2, -1
	s_cbranch_vccz .LBB23_996
; %bb.965:
	v_cmp_gt_i16_e32 vcc_lo, 24, v4
	s_mov_b32 s1, -1
	s_cbranch_vccnz .LBB23_985
; %bb.966:
	v_cmp_lt_i16_e32 vcc_lo, 24, v4
	s_cbranch_vccz .LBB23_974
; %bb.967:
	v_and_b32_e32 v1, 0x7fffffff, v0
	v_mov_b32_e32 v5, 0x80
	s_mov_b32 s1, exec_lo
	s_delay_alu instid0(VALU_DEP_2)
	v_cmpx_gt_u32_e32 0x47800000, v1
	s_cbranch_execz .LBB23_973
; %bb.968:
	v_cmp_lt_u32_e32 vcc_lo, 0x37ffffff, v1
	s_mov_b32 s2, 0
                                        ; implicit-def: $vgpr1
	s_and_saveexec_b32 s3, vcc_lo
	s_delay_alu instid0(SALU_CYCLE_1)
	s_xor_b32 s3, exec_lo, s3
	s_cbranch_execz .LBB23_1116
; %bb.969:
	v_bfe_u32 v1, v0, 21, 1
	s_mov_b32 s2, exec_lo
	s_delay_alu instid0(VALU_DEP_1) | instskip(NEXT) | instid1(VALU_DEP_1)
	v_add3_u32 v1, v0, v1, 0x88fffff
	v_lshrrev_b32_e32 v1, 21, v1
	s_or_saveexec_b32 s3, s3
                                        ; implicit-def: $sgpr4
	s_delay_alu instid0(SALU_CYCLE_1)
	s_xor_b32 exec_lo, exec_lo, s3
	s_cbranch_execnz .LBB23_1117
.LBB23_970:
	s_or_b32 exec_lo, exec_lo, s3
	v_mov_b32_e32 v5, s4
	s_and_saveexec_b32 s3, s2
.LBB23_971:
	v_lshrrev_b32_e32 v5, 24, v0
	s_delay_alu instid0(VALU_DEP_1)
	v_and_or_b32 v5, 0x80, v5, v1
.LBB23_972:
	s_or_b32 exec_lo, exec_lo, s3
.LBB23_973:
	s_delay_alu instid0(SALU_CYCLE_1)
	s_or_b32 exec_lo, exec_lo, s1
	s_mov_b32 s1, 0
	global_store_b8 v[2:3], v5, off
.LBB23_974:
	s_and_b32 vcc_lo, exec_lo, s1
	s_cbranch_vccz .LBB23_984
; %bb.975:
	v_and_b32_e32 v5, 0x7fffffff, v0
	s_mov_b32 s1, exec_lo
                                        ; implicit-def: $vgpr1
	s_delay_alu instid0(VALU_DEP_1)
	v_cmpx_gt_u32_e32 0x43f00000, v5
	s_xor_b32 s1, exec_lo, s1
	s_cbranch_execz .LBB23_981
; %bb.976:
	s_mov_b32 s2, exec_lo
                                        ; implicit-def: $vgpr1
	v_cmpx_lt_u32_e32 0x3c7fffff, v5
	s_xor_b32 s2, exec_lo, s2
; %bb.977:
	v_bfe_u32 v1, v0, 20, 1
	s_delay_alu instid0(VALU_DEP_1) | instskip(NEXT) | instid1(VALU_DEP_1)
	v_add3_u32 v1, v0, v1, 0x407ffff
	v_and_b32_e32 v5, 0xff00000, v1
	v_lshrrev_b32_e32 v1, 20, v1
	s_delay_alu instid0(VALU_DEP_2) | instskip(NEXT) | instid1(VALU_DEP_2)
	v_cmp_ne_u32_e32 vcc_lo, 0x7f00000, v5
	v_cndmask_b32_e32 v1, 0x7e, v1, vcc_lo
; %bb.978:
	s_and_not1_saveexec_b32 s2, s2
; %bb.979:
	v_add_f32_e64 v1, 0x46800000, |v0|
; %bb.980:
	s_or_b32 exec_lo, exec_lo, s2
                                        ; implicit-def: $vgpr5
.LBB23_981:
	s_and_not1_saveexec_b32 s1, s1
; %bb.982:
	v_mov_b32_e32 v1, 0x7f
	v_cmp_lt_u32_e32 vcc_lo, 0x7f800000, v5
	s_delay_alu instid0(VALU_DEP_2)
	v_cndmask_b32_e32 v1, 0x7e, v1, vcc_lo
; %bb.983:
	s_or_b32 exec_lo, exec_lo, s1
	v_lshrrev_b32_e32 v5, 24, v0
	s_delay_alu instid0(VALU_DEP_1)
	v_and_or_b32 v1, 0x80, v5, v1
	global_store_b8 v[2:3], v1, off
.LBB23_984:
	s_mov_b32 s1, 0
.LBB23_985:
	s_delay_alu instid0(SALU_CYCLE_1)
	s_and_not1_b32 vcc_lo, exec_lo, s1
	s_cbranch_vccnz .LBB23_995
; %bb.986:
	v_and_b32_e32 v5, 0x7fffffff, v0
	s_mov_b32 s1, exec_lo
                                        ; implicit-def: $vgpr1
	s_delay_alu instid0(VALU_DEP_1)
	v_cmpx_gt_u32_e32 0x47800000, v5
	s_xor_b32 s1, exec_lo, s1
	s_cbranch_execz .LBB23_992
; %bb.987:
	s_mov_b32 s2, exec_lo
                                        ; implicit-def: $vgpr1
	v_cmpx_lt_u32_e32 0x387fffff, v5
	s_xor_b32 s2, exec_lo, s2
; %bb.988:
	v_bfe_u32 v1, v0, 21, 1
	s_delay_alu instid0(VALU_DEP_1) | instskip(NEXT) | instid1(VALU_DEP_1)
	v_add3_u32 v1, v0, v1, 0x80fffff
	v_lshrrev_b32_e32 v1, 21, v1
; %bb.989:
	s_and_not1_saveexec_b32 s2, s2
; %bb.990:
	v_add_f32_e64 v1, 0x43000000, |v0|
; %bb.991:
	s_or_b32 exec_lo, exec_lo, s2
                                        ; implicit-def: $vgpr5
.LBB23_992:
	s_and_not1_saveexec_b32 s1, s1
; %bb.993:
	v_mov_b32_e32 v1, 0x7f
	v_cmp_lt_u32_e32 vcc_lo, 0x7f800000, v5
	s_delay_alu instid0(VALU_DEP_2)
	v_cndmask_b32_e32 v1, 0x7c, v1, vcc_lo
; %bb.994:
	s_or_b32 exec_lo, exec_lo, s1
	v_lshrrev_b32_e32 v5, 24, v0
	s_delay_alu instid0(VALU_DEP_1)
	v_and_or_b32 v1, 0x80, v5, v1
	global_store_b8 v[2:3], v1, off
.LBB23_995:
	s_mov_b32 s2, 0
	s_mov_b32 s1, -1
.LBB23_996:
	s_and_not1_b32 vcc_lo, exec_lo, s2
	s_cbranch_vccnz .LBB23_1004
; %bb.997:
	v_cmp_lt_i16_e32 vcc_lo, 14, v4
	s_mov_b32 s2, -1
	s_cbranch_vccz .LBB23_1001
; %bb.998:
	v_cmp_eq_u16_e32 vcc_lo, 15, v4
	s_mov_b32 s0, -1
	s_cbranch_vccz .LBB23_1000
; %bb.999:
	v_bfe_u32 v1, v0, 16, 1
	v_cmp_o_f32_e32 vcc_lo, v0, v0
	s_mov_b32 s1, -1
	s_mov_b32 s0, 0
	s_delay_alu instid0(VALU_DEP_2) | instskip(NEXT) | instid1(VALU_DEP_1)
	v_add3_u32 v1, v0, v1, 0x7fff
	v_lshrrev_b32_e32 v1, 16, v1
	s_delay_alu instid0(VALU_DEP_1)
	v_cndmask_b32_e32 v1, 0x7fc0, v1, vcc_lo
	global_store_b16 v[2:3], v1, off
.LBB23_1000:
	s_mov_b32 s2, 0
.LBB23_1001:
	s_delay_alu instid0(SALU_CYCLE_1)
	s_and_b32 vcc_lo, exec_lo, s2
	s_cbranch_vccz .LBB23_1004
; %bb.1002:
	v_cmp_eq_u16_e32 vcc_lo, 11, v4
	s_mov_b32 s0, -1
	s_cbranch_vccz .LBB23_1004
; %bb.1003:
	v_cmp_neq_f32_e32 vcc_lo, 0, v0
	s_mov_b32 s0, 0
	s_mov_b32 s1, -1
	v_cndmask_b32_e64 v1, 0, 1, vcc_lo
	global_store_b8 v[2:3], v1, off
.LBB23_1004:
.LBB23_1005:
	s_and_not1_b32 vcc_lo, exec_lo, s1
	s_cbranch_vccnz .LBB23_919
.LBB23_1006:
	v_add_nc_u32_e32 v25, 0x80, v25
	s_mov_b32 s1, -1
.LBB23_1007:
	s_and_not1_b32 s2, s46, exec_lo
	s_and_b32 s0, s0, exec_lo
	s_delay_alu instid0(SALU_CYCLE_1)
	s_or_b32 s49, s2, s0
	s_or_not1_b32 s2, s1, exec_lo
.LBB23_1008:
	s_or_b32 exec_lo, exec_lo, s48
	s_mov_b32 s0, 0
	s_mov_b32 s1, 0
                                        ; implicit-def: $vgpr4
                                        ; implicit-def: $vgpr2_vgpr3
                                        ; implicit-def: $vgpr0
	s_and_saveexec_b32 s48, s2
	s_cbranch_execz .LBB23_1100
; %bb.1009:
	v_cmp_gt_i32_e32 vcc_lo, s41, v25
	s_mov_b32 s2, s49
                                        ; implicit-def: $vgpr4
                                        ; implicit-def: $vgpr2_vgpr3
                                        ; implicit-def: $vgpr0
	s_and_saveexec_b32 s41, vcc_lo
	s_cbranch_execz .LBB23_1099
; %bb.1010:
	s_and_not1_b32 vcc_lo, exec_lo, s38
	s_cbranch_vccnz .LBB23_1015
; %bb.1011:
	v_mov_b32_e32 v24, 0
	v_mov_b32_e32 v2, 0
	s_and_not1_b32 vcc_lo, exec_lo, s43
	s_mov_b32 s4, 0
	s_cbranch_vccnz .LBB23_1020
; %bb.1012:
	v_mov_b32_e32 v24, 0
	s_add_i32 s42, s42, 1
	s_cmp_eq_u32 s36, 2
	s_mov_b32 s2, 0
	s_cbranch_scc1 .LBB23_1016
; %bb.1013:
	v_mov_b32_e32 v2, 0
	v_mov_b32_e32 v24, 0
	;; [unrolled: 1-line block ×3, first 2 shown]
	s_and_b32 s2, s42, 28
	s_mov_b32 s3, 0
	s_mov_b64 s[0:1], s[14:15]
.LBB23_1014:                            ; =>This Inner Loop Header: Depth=1
	s_clause 0x1
	s_load_b256 s[52:59], s[0:1], 0x4
	s_load_b128 s[8:11], s[0:1], 0x24
	s_load_b256 s[60:67], s[34:35], 0x0
	s_add_u32 s0, s0, 48
	s_addc_u32 s1, s1, 0
	s_add_i32 s3, s3, 4
	s_add_u32 s34, s34, 32
	s_addc_u32 s35, s35, 0
	s_cmp_eq_u32 s2, s3
	s_waitcnt lgkmcnt(0)
	v_mul_hi_u32 v1, s53, v0
	s_delay_alu instid0(VALU_DEP_1) | instskip(NEXT) | instid1(VALU_DEP_1)
	v_add_nc_u32_e32 v1, v0, v1
	v_lshrrev_b32_e32 v1, s54, v1
	s_delay_alu instid0(VALU_DEP_1) | instskip(SKIP_1) | instid1(VALU_DEP_2)
	v_mul_hi_u32 v3, s56, v1
	v_mul_lo_u32 v5, v1, s52
	v_add_nc_u32_e32 v3, v1, v3
	s_delay_alu instid0(VALU_DEP_2) | instskip(NEXT) | instid1(VALU_DEP_2)
	v_sub_nc_u32_e32 v0, v0, v5
	v_lshrrev_b32_e32 v3, s57, v3
	s_delay_alu instid0(VALU_DEP_2) | instskip(SKIP_1) | instid1(VALU_DEP_3)
	v_mul_lo_u32 v5, v0, s60
	v_mul_lo_u32 v7, v0, s61
	v_mul_hi_u32 v4, s59, v3
	s_delay_alu instid0(VALU_DEP_1) | instskip(NEXT) | instid1(VALU_DEP_1)
	v_add_nc_u32_e32 v4, v3, v4
	v_lshrrev_b32_e32 v4, s8, v4
	s_delay_alu instid0(VALU_DEP_1) | instskip(SKIP_1) | instid1(VALU_DEP_2)
	v_mul_hi_u32 v6, s10, v4
	v_mul_lo_u32 v8, v4, s58
	v_add_nc_u32_e32 v0, v4, v6
	v_mul_lo_u32 v6, v3, s55
	s_delay_alu instid0(VALU_DEP_3) | instskip(NEXT) | instid1(VALU_DEP_3)
	v_sub_nc_u32_e32 v3, v3, v8
	v_lshrrev_b32_e32 v0, s11, v0
	s_delay_alu instid0(VALU_DEP_2) | instskip(SKIP_2) | instid1(VALU_DEP_4)
	v_mul_lo_u32 v8, v3, s64
	v_mul_lo_u32 v3, v3, s65
	v_sub_nc_u32_e32 v1, v1, v6
	v_mul_lo_u32 v9, v0, s9
	s_delay_alu instid0(VALU_DEP_2) | instskip(SKIP_1) | instid1(VALU_DEP_3)
	v_mul_lo_u32 v6, v1, s62
	v_mul_lo_u32 v1, v1, s63
	v_sub_nc_u32_e32 v4, v4, v9
	s_delay_alu instid0(VALU_DEP_3) | instskip(NEXT) | instid1(VALU_DEP_2)
	v_add3_u32 v5, v5, v24, v6
	v_mul_lo_u32 v9, v4, s66
	v_mul_lo_u32 v4, v4, s67
	v_add3_u32 v1, v7, v2, v1
	s_delay_alu instid0(VALU_DEP_3) | instskip(NEXT) | instid1(VALU_DEP_2)
	v_add3_u32 v24, v8, v5, v9
	v_add3_u32 v2, v3, v1, v4
	s_cbranch_scc0 .LBB23_1014
	s_branch .LBB23_1017
.LBB23_1015:
	s_mov_b32 s4, -1
                                        ; implicit-def: $vgpr24
                                        ; implicit-def: $vgpr2
	s_branch .LBB23_1020
.LBB23_1016:
	v_mov_b32_e32 v0, v25
	v_mov_b32_e32 v2, 0
.LBB23_1017:
	s_and_b32 s5, s42, 3
	s_delay_alu instid0(SALU_CYCLE_1)
	s_cmp_eq_u32 s5, 0
	s_cbranch_scc1 .LBB23_1020
; %bb.1018:
	s_lshl_b32 s0, s2, 3
	s_mul_i32 s2, s2, 12
	s_add_u32 s0, s0, s14
	s_addc_u32 s1, s15, 0
	s_add_u32 s0, s0, 0xc4
	s_addc_u32 s1, s1, 0
	;; [unrolled: 2-line block ×3, first 2 shown]
.LBB23_1019:                            ; =>This Inner Loop Header: Depth=1
	s_clause 0x1
	s_load_b64 s[6:7], s[2:3], 0x4
	s_load_b32 s10, s[2:3], 0xc
	s_load_b64 s[8:9], s[0:1], 0x0
	s_add_u32 s2, s2, 12
	s_addc_u32 s3, s3, 0
	s_add_u32 s0, s0, 8
	s_addc_u32 s1, s1, 0
	s_add_i32 s5, s5, -1
	s_delay_alu instid0(SALU_CYCLE_1) | instskip(SKIP_2) | instid1(VALU_DEP_1)
	s_cmp_lg_u32 s5, 0
	s_waitcnt lgkmcnt(0)
	v_mul_hi_u32 v1, s7, v0
	v_add_nc_u32_e32 v1, v0, v1
	s_delay_alu instid0(VALU_DEP_1) | instskip(NEXT) | instid1(VALU_DEP_1)
	v_lshrrev_b32_e32 v1, s10, v1
	v_mul_lo_u32 v3, v1, s6
	s_delay_alu instid0(VALU_DEP_1) | instskip(NEXT) | instid1(VALU_DEP_1)
	v_sub_nc_u32_e32 v0, v0, v3
	v_mad_u64_u32 v[3:4], null, v0, s8, v[24:25]
	s_delay_alu instid0(VALU_DEP_1) | instskip(SKIP_2) | instid1(VALU_DEP_2)
	v_mov_b32_e32 v24, v3
	v_mad_u64_u32 v[4:5], null, v0, s9, v[2:3]
	v_mov_b32_e32 v0, v1
	v_mov_b32_e32 v2, v4
	s_cbranch_scc1 .LBB23_1019
.LBB23_1020:
	s_and_not1_b32 vcc_lo, exec_lo, s4
	s_cbranch_vccnz .LBB23_1023
; %bb.1021:
	s_waitcnt lgkmcnt(0)
	v_mul_hi_u32 v0, s25, v25
	s_and_not1_b32 vcc_lo, exec_lo, s40
	s_delay_alu instid0(VALU_DEP_1) | instskip(NEXT) | instid1(VALU_DEP_1)
	v_add_nc_u32_e32 v0, v25, v0
	v_lshrrev_b32_e32 v0, s26, v0
	s_delay_alu instid0(VALU_DEP_1) | instskip(NEXT) | instid1(VALU_DEP_1)
	v_mul_lo_u32 v1, v0, s24
	v_sub_nc_u32_e32 v1, v25, v1
	s_delay_alu instid0(VALU_DEP_1)
	v_mul_lo_u32 v24, v1, s20
	v_mul_lo_u32 v2, v1, s21
	s_cbranch_vccnz .LBB23_1023
; %bb.1022:
	v_mul_hi_u32 v1, s28, v0
	s_delay_alu instid0(VALU_DEP_1) | instskip(NEXT) | instid1(VALU_DEP_1)
	v_add_nc_u32_e32 v1, v0, v1
	v_lshrrev_b32_e32 v1, s29, v1
	s_delay_alu instid0(VALU_DEP_1) | instskip(NEXT) | instid1(VALU_DEP_1)
	v_mul_lo_u32 v1, v1, s27
	v_sub_nc_u32_e32 v5, v0, v1
	s_delay_alu instid0(VALU_DEP_1) | instskip(SKIP_1) | instid1(VALU_DEP_2)
	v_mad_u64_u32 v[0:1], null, v5, s22, v[24:25]
	v_mad_u64_u32 v[3:4], null, v5, s23, v[2:3]
	v_mov_b32_e32 v24, v0
	s_delay_alu instid0(VALU_DEP_2)
	v_mov_b32_e32 v2, v3
.LBB23_1023:
	s_waitcnt lgkmcnt(0)
	v_dual_mov_b32 v0, s18 :: v_dual_mov_b32 v1, s19
	v_mov_b32_e32 v3, v23
	s_getpc_b64 s[0:1]
	s_add_u32 s0, s0, _ZN2at6native6invokeIZZZNS0_12_GLOBAL__N_130modified_bessel_k0_kernel_cudaERNS_18TensorIteratorBaseEENKUlvE_clEvENKUlvE0_clEvEUlfE_j15function_traitsIS7_EEENT1_11result_typeERKT_PrKPcPKT0_PKN3c1010ScalarTypeEi@rel32@lo+4
	s_addc_u32 s1, s1, _ZN2at6native6invokeIZZZNS0_12_GLOBAL__N_130modified_bessel_k0_kernel_cudaERNS_18TensorIteratorBaseEENKUlvE_clEvENKUlvE0_clEvEUlfE_j15function_traitsIS7_EEENT1_11result_typeERKT_PrKPcPKT0_PKN3c1010ScalarTypeEi@rel32@hi+12
	s_delay_alu instid0(SALU_CYCLE_1) | instskip(SKIP_2) | instid1(VALU_DEP_1)
	s_swappc_b64 s[30:31], s[0:1]
	v_and_b32_e32 v4, 0xff, v26
	v_add_co_u32 v2, s0, s16, v24
	v_add_co_ci_u32_e64 v3, null, s17, 0, s0
	s_delay_alu instid0(VALU_DEP_3)
	v_cmp_gt_i16_e32 vcc_lo, 11, v4
	s_mov_b32 s2, 0
	s_mov_b32 s1, -1
	s_mov_b32 s0, s49
	s_cbranch_vccnz .LBB23_1098
; %bb.1024:
	v_cmp_lt_i16_e32 vcc_lo, 25, v4
	s_mov_b32 s0, s49
	s_cbranch_vccz .LBB23_1057
; %bb.1025:
	v_cmp_lt_i16_e32 vcc_lo, 28, v4
	s_mov_b32 s0, s49
	s_cbranch_vccz .LBB23_1041
	;; [unrolled: 4-line block ×4, first 2 shown]
; %bb.1028:
	v_cmp_eq_u16_e32 vcc_lo, 46, v4
	s_mov_b32 s0, -1
	s_cbranch_vccz .LBB23_1030
; %bb.1029:
	v_bfe_u32 v1, v0, 16, 1
	v_cmp_o_f32_e32 vcc_lo, v0, v0
	s_mov_b32 s0, 0
	s_delay_alu instid0(VALU_DEP_2) | instskip(NEXT) | instid1(VALU_DEP_1)
	v_add3_u32 v1, v0, v1, 0x7fff
	v_lshrrev_b32_e32 v1, 16, v1
	s_delay_alu instid0(VALU_DEP_1)
	v_cndmask_b32_e32 v1, 0x7fc0, v1, vcc_lo
	global_store_b32 v[2:3], v1, off
.LBB23_1030:
	s_mov_b32 s1, 0
.LBB23_1031:
	s_delay_alu instid0(SALU_CYCLE_1)
	s_and_b32 vcc_lo, exec_lo, s1
	s_cbranch_vccz .LBB23_1036
; %bb.1032:
	v_cmp_eq_u16_e32 vcc_lo, 44, v4
	s_mov_b32 s0, -1
	s_cbranch_vccz .LBB23_1036
; %bb.1033:
	v_bfe_u32 v5, v0, 23, 8
	v_mov_b32_e32 v1, 0xff
	s_mov_b32 s1, exec_lo
	s_delay_alu instid0(VALU_DEP_2)
	v_cmpx_ne_u32_e32 0xff, v5
; %bb.1034:
	v_and_b32_e32 v1, 0x400000, v0
	v_and_or_b32 v5, 0x3fffff, v0, v5
	s_delay_alu instid0(VALU_DEP_2) | instskip(NEXT) | instid1(VALU_DEP_2)
	v_cmp_ne_u32_e32 vcc_lo, 0, v1
	v_cmp_ne_u32_e64 s0, 0, v5
	v_lshrrev_b32_e32 v1, 23, v0
	s_delay_alu instid0(VALU_DEP_2) | instskip(NEXT) | instid1(SALU_CYCLE_1)
	s_and_b32 s0, vcc_lo, s0
	v_cndmask_b32_e64 v5, 0, 1, s0
	s_delay_alu instid0(VALU_DEP_1)
	v_add_nc_u32_e32 v1, v1, v5
; %bb.1035:
	s_or_b32 exec_lo, exec_lo, s1
	s_mov_b32 s0, 0
	global_store_b8 v[2:3], v1, off
.LBB23_1036:
	s_mov_b32 s1, 0
.LBB23_1037:
	s_delay_alu instid0(SALU_CYCLE_1)
	s_and_b32 vcc_lo, exec_lo, s1
	s_cbranch_vccz .LBB23_1040
; %bb.1038:
	v_cmp_eq_u16_e32 vcc_lo, 29, v4
	s_mov_b32 s0, -1
	s_cbranch_vccz .LBB23_1040
; %bb.1039:
	v_trunc_f32_e32 v1, v0
	s_mov_b32 s0, 0
	s_delay_alu instid0(VALU_DEP_1) | instskip(NEXT) | instid1(VALU_DEP_1)
	v_mul_f32_e32 v5, 0x2f800000, v1
	v_floor_f32_e32 v5, v5
	s_delay_alu instid0(VALU_DEP_1) | instskip(SKIP_1) | instid1(VALU_DEP_2)
	v_fmamk_f32 v1, v5, 0xcf800000, v1
	v_cvt_u32_f32_e32 v6, v5
	v_cvt_u32_f32_e32 v5, v1
	global_store_b64 v[2:3], v[5:6], off
.LBB23_1040:
	s_mov_b32 s1, 0
.LBB23_1041:
	s_delay_alu instid0(SALU_CYCLE_1)
	s_and_b32 vcc_lo, exec_lo, s1
	s_cbranch_vccz .LBB23_1056
; %bb.1042:
	v_cmp_gt_i16_e32 vcc_lo, 27, v4
	s_mov_b32 s1, -1
	s_cbranch_vccnz .LBB23_1048
; %bb.1043:
	v_cmp_lt_i16_e32 vcc_lo, 27, v4
	s_cbranch_vccz .LBB23_1045
; %bb.1044:
	v_cvt_u32_f32_e32 v1, v0
	s_mov_b32 s1, 0
	global_store_b32 v[2:3], v1, off
.LBB23_1045:
	s_and_not1_b32 vcc_lo, exec_lo, s1
	s_cbranch_vccnz .LBB23_1047
; %bb.1046:
	v_cvt_u32_f32_e32 v1, v0
	global_store_b16 v[2:3], v1, off
.LBB23_1047:
	s_mov_b32 s1, 0
.LBB23_1048:
	s_delay_alu instid0(SALU_CYCLE_1)
	s_and_not1_b32 vcc_lo, exec_lo, s1
	s_cbranch_vccnz .LBB23_1056
; %bb.1049:
	v_and_b32_e32 v1, 0x7fffffff, v0
	v_mov_b32_e32 v5, 0x80
	s_mov_b32 s1, exec_lo
	s_delay_alu instid0(VALU_DEP_2)
	v_cmpx_gt_u32_e32 0x43800000, v1
	s_cbranch_execz .LBB23_1055
; %bb.1050:
	v_cmp_lt_u32_e32 vcc_lo, 0x3bffffff, v1
                                        ; implicit-def: $vgpr1
	s_and_saveexec_b32 s3, vcc_lo
	s_delay_alu instid0(SALU_CYCLE_1)
	s_xor_b32 s3, exec_lo, s3
	s_cbranch_execz .LBB23_1118
; %bb.1051:
	v_bfe_u32 v1, v0, 20, 1
	s_mov_b32 s2, exec_lo
	s_delay_alu instid0(VALU_DEP_1) | instskip(NEXT) | instid1(VALU_DEP_1)
	v_add3_u32 v1, v0, v1, 0x487ffff
	v_lshrrev_b32_e32 v1, 20, v1
	s_or_saveexec_b32 s3, s3
                                        ; implicit-def: $sgpr4
	s_delay_alu instid0(SALU_CYCLE_1)
	s_xor_b32 exec_lo, exec_lo, s3
	s_cbranch_execnz .LBB23_1119
.LBB23_1052:
	s_or_b32 exec_lo, exec_lo, s3
	v_mov_b32_e32 v5, s4
	s_and_saveexec_b32 s3, s2
.LBB23_1053:
	v_lshrrev_b32_e32 v5, 24, v0
	s_delay_alu instid0(VALU_DEP_1)
	v_and_or_b32 v5, 0x80, v5, v1
.LBB23_1054:
	s_or_b32 exec_lo, exec_lo, s3
.LBB23_1055:
	s_delay_alu instid0(SALU_CYCLE_1)
	s_or_b32 exec_lo, exec_lo, s1
	global_store_b8 v[2:3], v5, off
.LBB23_1056:
	s_mov_b32 s1, 0
.LBB23_1057:
	s_delay_alu instid0(SALU_CYCLE_1)
	s_and_b32 vcc_lo, exec_lo, s1
	s_mov_b32 s1, 0
	s_cbranch_vccz .LBB23_1097
; %bb.1058:
	v_cmp_lt_i16_e32 vcc_lo, 22, v4
	s_mov_b32 s2, -1
	s_cbranch_vccz .LBB23_1090
; %bb.1059:
	v_cmp_gt_i16_e32 vcc_lo, 24, v4
	s_cbranch_vccnz .LBB23_1079
; %bb.1060:
	v_cmp_lt_i16_e32 vcc_lo, 24, v4
	s_cbranch_vccz .LBB23_1068
; %bb.1061:
	v_and_b32_e32 v1, 0x7fffffff, v0
	v_mov_b32_e32 v5, 0x80
	s_mov_b32 s2, exec_lo
	s_delay_alu instid0(VALU_DEP_2)
	v_cmpx_gt_u32_e32 0x47800000, v1
	s_cbranch_execz .LBB23_1067
; %bb.1062:
	v_cmp_lt_u32_e32 vcc_lo, 0x37ffffff, v1
	s_mov_b32 s3, 0
                                        ; implicit-def: $vgpr1
	s_and_saveexec_b32 s4, vcc_lo
	s_delay_alu instid0(SALU_CYCLE_1)
	s_xor_b32 s4, exec_lo, s4
	s_cbranch_execz .LBB23_1124
; %bb.1063:
	v_bfe_u32 v1, v0, 21, 1
	s_mov_b32 s3, exec_lo
	s_delay_alu instid0(VALU_DEP_1) | instskip(NEXT) | instid1(VALU_DEP_1)
	v_add3_u32 v1, v0, v1, 0x88fffff
	v_lshrrev_b32_e32 v1, 21, v1
	s_or_saveexec_b32 s4, s4
                                        ; implicit-def: $sgpr5
	s_delay_alu instid0(SALU_CYCLE_1)
	s_xor_b32 exec_lo, exec_lo, s4
	s_cbranch_execnz .LBB23_1125
.LBB23_1064:
	s_or_b32 exec_lo, exec_lo, s4
	v_mov_b32_e32 v5, s5
	s_and_saveexec_b32 s4, s3
.LBB23_1065:
	v_lshrrev_b32_e32 v5, 24, v0
	s_delay_alu instid0(VALU_DEP_1)
	v_and_or_b32 v5, 0x80, v5, v1
.LBB23_1066:
	s_or_b32 exec_lo, exec_lo, s4
.LBB23_1067:
	s_delay_alu instid0(SALU_CYCLE_1)
	s_or_b32 exec_lo, exec_lo, s2
	s_mov_b32 s2, 0
	global_store_b8 v[2:3], v5, off
.LBB23_1068:
	s_and_b32 vcc_lo, exec_lo, s2
	s_cbranch_vccz .LBB23_1078
; %bb.1069:
	v_and_b32_e32 v5, 0x7fffffff, v0
	s_mov_b32 s2, exec_lo
                                        ; implicit-def: $vgpr1
	s_delay_alu instid0(VALU_DEP_1)
	v_cmpx_gt_u32_e32 0x43f00000, v5
	s_xor_b32 s2, exec_lo, s2
	s_cbranch_execz .LBB23_1075
; %bb.1070:
	s_mov_b32 s3, exec_lo
                                        ; implicit-def: $vgpr1
	v_cmpx_lt_u32_e32 0x3c7fffff, v5
	s_xor_b32 s3, exec_lo, s3
; %bb.1071:
	v_bfe_u32 v1, v0, 20, 1
	s_delay_alu instid0(VALU_DEP_1) | instskip(NEXT) | instid1(VALU_DEP_1)
	v_add3_u32 v1, v0, v1, 0x407ffff
	v_and_b32_e32 v5, 0xff00000, v1
	v_lshrrev_b32_e32 v1, 20, v1
	s_delay_alu instid0(VALU_DEP_2) | instskip(NEXT) | instid1(VALU_DEP_2)
	v_cmp_ne_u32_e32 vcc_lo, 0x7f00000, v5
	v_cndmask_b32_e32 v1, 0x7e, v1, vcc_lo
; %bb.1072:
	s_and_not1_saveexec_b32 s3, s3
; %bb.1073:
	v_add_f32_e64 v1, 0x46800000, |v0|
; %bb.1074:
	s_or_b32 exec_lo, exec_lo, s3
                                        ; implicit-def: $vgpr5
.LBB23_1075:
	s_and_not1_saveexec_b32 s2, s2
; %bb.1076:
	v_mov_b32_e32 v1, 0x7f
	v_cmp_lt_u32_e32 vcc_lo, 0x7f800000, v5
	s_delay_alu instid0(VALU_DEP_2)
	v_cndmask_b32_e32 v1, 0x7e, v1, vcc_lo
; %bb.1077:
	s_or_b32 exec_lo, exec_lo, s2
	v_lshrrev_b32_e32 v5, 24, v0
	s_delay_alu instid0(VALU_DEP_1)
	v_and_or_b32 v1, 0x80, v5, v1
	global_store_b8 v[2:3], v1, off
.LBB23_1078:
	s_mov_b32 s2, 0
.LBB23_1079:
	s_delay_alu instid0(SALU_CYCLE_1)
	s_and_not1_b32 vcc_lo, exec_lo, s2
	s_cbranch_vccnz .LBB23_1089
; %bb.1080:
	v_and_b32_e32 v5, 0x7fffffff, v0
	s_mov_b32 s2, exec_lo
                                        ; implicit-def: $vgpr1
	s_delay_alu instid0(VALU_DEP_1)
	v_cmpx_gt_u32_e32 0x47800000, v5
	s_xor_b32 s2, exec_lo, s2
	s_cbranch_execz .LBB23_1086
; %bb.1081:
	s_mov_b32 s3, exec_lo
                                        ; implicit-def: $vgpr1
	v_cmpx_lt_u32_e32 0x387fffff, v5
	s_xor_b32 s3, exec_lo, s3
; %bb.1082:
	v_bfe_u32 v1, v0, 21, 1
	s_delay_alu instid0(VALU_DEP_1) | instskip(NEXT) | instid1(VALU_DEP_1)
	v_add3_u32 v1, v0, v1, 0x80fffff
	v_lshrrev_b32_e32 v1, 21, v1
; %bb.1083:
	s_and_not1_saveexec_b32 s3, s3
; %bb.1084:
	v_add_f32_e64 v1, 0x43000000, |v0|
; %bb.1085:
	s_or_b32 exec_lo, exec_lo, s3
                                        ; implicit-def: $vgpr5
.LBB23_1086:
	s_and_not1_saveexec_b32 s2, s2
; %bb.1087:
	v_mov_b32_e32 v1, 0x7f
	v_cmp_lt_u32_e32 vcc_lo, 0x7f800000, v5
	s_delay_alu instid0(VALU_DEP_2)
	v_cndmask_b32_e32 v1, 0x7c, v1, vcc_lo
; %bb.1088:
	s_or_b32 exec_lo, exec_lo, s2
	v_lshrrev_b32_e32 v5, 24, v0
	s_delay_alu instid0(VALU_DEP_1)
	v_and_or_b32 v1, 0x80, v5, v1
	global_store_b8 v[2:3], v1, off
.LBB23_1089:
	s_mov_b32 s2, 0
.LBB23_1090:
	s_delay_alu instid0(SALU_CYCLE_1)
	s_and_not1_b32 vcc_lo, exec_lo, s2
	s_mov_b32 s2, 0
	s_cbranch_vccnz .LBB23_1098
; %bb.1091:
	v_cmp_lt_i16_e32 vcc_lo, 14, v4
	s_mov_b32 s2, -1
	s_cbranch_vccz .LBB23_1095
; %bb.1092:
	v_cmp_eq_u16_e32 vcc_lo, 15, v4
	s_mov_b32 s0, -1
	s_cbranch_vccz .LBB23_1094
; %bb.1093:
	v_bfe_u32 v1, v0, 16, 1
	v_cmp_o_f32_e32 vcc_lo, v0, v0
	s_mov_b32 s0, 0
	s_delay_alu instid0(VALU_DEP_2) | instskip(NEXT) | instid1(VALU_DEP_1)
	v_add3_u32 v1, v0, v1, 0x7fff
	v_lshrrev_b32_e32 v1, 16, v1
	s_delay_alu instid0(VALU_DEP_1)
	v_cndmask_b32_e32 v1, 0x7fc0, v1, vcc_lo
	global_store_b16 v[2:3], v1, off
.LBB23_1094:
	s_mov_b32 s2, 0
.LBB23_1095:
	s_delay_alu instid0(SALU_CYCLE_1)
	s_and_b32 vcc_lo, exec_lo, s2
	s_mov_b32 s2, 0
	s_cbranch_vccz .LBB23_1098
; %bb.1096:
	v_cmp_ne_u16_e32 vcc_lo, 11, v4
	s_and_not1_b32 s0, s0, exec_lo
	s_mov_b32 s2, -1
	s_and_b32 s3, vcc_lo, exec_lo
	s_delay_alu instid0(SALU_CYCLE_1)
	s_or_b32 s0, s0, s3
	s_branch .LBB23_1098
.LBB23_1097:
	s_mov_b32 s2, 0
.LBB23_1098:
	s_and_not1_b32 s3, s49, exec_lo
	s_and_b32 s4, s0, exec_lo
	s_and_b32 s1, s1, exec_lo
	s_and_b32 s0, s2, exec_lo
	s_or_b32 s2, s3, s4
.LBB23_1099:
	s_or_b32 exec_lo, exec_lo, s41
	s_delay_alu instid0(SALU_CYCLE_1)
	s_and_not1_b32 s3, s49, exec_lo
	s_and_b32 s2, s2, exec_lo
	s_and_b32 s1, s1, exec_lo
	;; [unrolled: 1-line block ×3, first 2 shown]
	s_or_b32 s49, s3, s2
.LBB23_1100:
	s_or_b32 exec_lo, exec_lo, s48
	s_delay_alu instid0(SALU_CYCLE_1)
	s_and_not1_b32 s2, s46, exec_lo
	s_and_b32 s3, s49, exec_lo
	s_and_b32 s1, s1, exec_lo
	;; [unrolled: 1-line block ×3, first 2 shown]
	s_or_b32 s46, s2, s3
.LBB23_1101:
	s_or_b32 exec_lo, exec_lo, s47
	s_delay_alu instid0(SALU_CYCLE_1)
	s_and_not1_b32 s2, s44, exec_lo
	s_and_b32 s3, s46, exec_lo
	s_and_b32 s1, s1, exec_lo
	;; [unrolled: 1-line block ×3, first 2 shown]
	s_or_b32 s44, s2, s3
	s_or_b32 exec_lo, exec_lo, s45
	s_mov_b32 s0, 0
	s_and_saveexec_b32 s2, s44
	s_cbranch_execz .LBB23_142
.LBB23_1102:
	s_cbranch_execnz .LBB23_1104
; %bb.1103:
	s_mov_b32 s0, exec_lo
	s_and_not1_b32 s46, s46, exec_lo
	s_or_b32 exec_lo, exec_lo, s2
	s_and_saveexec_b32 s2, s46
	s_delay_alu instid0(SALU_CYCLE_1)
	s_xor_b32 s2, exec_lo, s2
	s_cbranch_execnz .LBB23_143
	s_branch .LBB23_144
.LBB23_1104:
	s_trap 2
	s_sendmsg_rtn_b32 s0, sendmsg(MSG_RTN_GET_DOORBELL)
	s_mov_b32 ttmp2, m0
	s_waitcnt lgkmcnt(0)
	s_and_b32 s0, s0, 0x3ff
	s_delay_alu instid0(SALU_CYCLE_1) | instskip(NEXT) | instid1(SALU_CYCLE_1)
	s_bitset1_b32 s0, 10
	s_mov_b32 m0, s0
	s_sendmsg sendmsg(MSG_INTERRUPT)
	s_mov_b32 m0, ttmp2
.LBB23_1105:                            ; =>This Inner Loop Header: Depth=1
	s_sethalt 5
	s_branch .LBB23_1105
.LBB23_1106:
	s_or_saveexec_b32 s3, s3
                                        ; implicit-def: $sgpr4
	s_delay_alu instid0(SALU_CYCLE_1)
	s_xor_b32 exec_lo, exec_lo, s3
	s_cbranch_execz .LBB23_957
.LBB23_1107:
	v_add_f32_e64 v1, 0x46000000, |v0|
	s_and_not1_b32 s2, s2, exec_lo
	s_mov_b32 s4, 0
	s_delay_alu instid0(VALU_DEP_1) | instskip(NEXT) | instid1(VALU_DEP_1)
	v_and_b32_e32 v1, 0xff, v1
	v_cmp_ne_u32_e32 vcc_lo, 0, v1
	s_and_b32 s5, vcc_lo, exec_lo
	s_delay_alu instid0(SALU_CYCLE_1)
	s_or_b32 s2, s2, s5
	s_or_b32 exec_lo, exec_lo, s3
	v_mov_b32_e32 v5, s4
	s_and_saveexec_b32 s3, s2
	s_cbranch_execnz .LBB23_958
	s_branch .LBB23_959
.LBB23_1108:
	s_or_saveexec_b32 s4, s4
                                        ; implicit-def: $sgpr5
	s_delay_alu instid0(SALU_CYCLE_1)
	s_xor_b32 exec_lo, exec_lo, s4
	s_cbranch_execz .LBB23_513
.LBB23_1109:
	v_add_f32_e64 v3, 0x42800000, |v23|
	s_and_not1_b32 s3, s3, exec_lo
	s_mov_b32 s5, 0
	s_delay_alu instid0(VALU_DEP_1) | instskip(NEXT) | instid1(VALU_DEP_1)
	v_and_b32_e32 v3, 0xff, v3
	v_cmp_ne_u32_e32 vcc_lo, 0, v3
	s_and_b32 s6, vcc_lo, exec_lo
	s_delay_alu instid0(SALU_CYCLE_1)
	s_or_b32 s3, s3, s6
	s_or_b32 exec_lo, exec_lo, s4
	v_mov_b32_e32 v5, s5
	s_and_saveexec_b32 s4, s3
	s_cbranch_execnz .LBB23_514
	s_branch .LBB23_515
.LBB23_1110:
	s_or_saveexec_b32 s5, s5
                                        ; implicit-def: $sgpr6
	s_delay_alu instid0(SALU_CYCLE_1)
	s_xor_b32 exec_lo, exec_lo, s5
	s_cbranch_execz .LBB23_619
.LBB23_1111:
	v_add_f32_e64 v1, 0x46000000, |v0|
	s_and_not1_b32 s4, s4, exec_lo
	s_mov_b32 s6, 0
	s_delay_alu instid0(VALU_DEP_1) | instskip(NEXT) | instid1(VALU_DEP_1)
	v_and_b32_e32 v1, 0xff, v1
	v_cmp_ne_u32_e32 vcc_lo, 0, v1
	s_and_b32 s7, vcc_lo, exec_lo
	s_delay_alu instid0(SALU_CYCLE_1)
	s_or_b32 s4, s4, s7
	s_or_b32 exec_lo, exec_lo, s5
	v_mov_b32_e32 v5, s6
	s_and_saveexec_b32 s5, s4
	s_cbranch_execnz .LBB23_620
	s_branch .LBB23_621
.LBB23_1112:
	s_trap 2
	s_sendmsg_rtn_b32 s0, sendmsg(MSG_RTN_GET_DOORBELL)
	s_mov_b32 ttmp2, m0
	s_waitcnt lgkmcnt(0)
	s_and_b32 s0, s0, 0x3ff
	s_delay_alu instid0(SALU_CYCLE_1) | instskip(NEXT) | instid1(SALU_CYCLE_1)
	s_bitset1_b32 s0, 10
	s_mov_b32 m0, s0
	s_sendmsg sendmsg(MSG_INTERRUPT)
	s_mov_b32 m0, ttmp2
.LBB23_1113:                            ; =>This Inner Loop Header: Depth=1
	s_sethalt 5
	s_branch .LBB23_1113
.LBB23_1114:
	s_cbranch_execnz .LBB23_1122
; %bb.1115:
	s_mov_b32 s2, 0
	s_or_b32 s1, s1, exec_lo
	s_branch .LBB23_665
.LBB23_1116:
	s_or_saveexec_b32 s3, s3
                                        ; implicit-def: $sgpr4
	s_delay_alu instid0(SALU_CYCLE_1)
	s_xor_b32 exec_lo, exec_lo, s3
	s_cbranch_execz .LBB23_970
.LBB23_1117:
	v_add_f32_e64 v1, 0x42800000, |v0|
	s_and_not1_b32 s2, s2, exec_lo
	s_mov_b32 s4, 0
	s_delay_alu instid0(VALU_DEP_1) | instskip(NEXT) | instid1(VALU_DEP_1)
	v_and_b32_e32 v1, 0xff, v1
	v_cmp_ne_u32_e32 vcc_lo, 0, v1
	s_and_b32 s5, vcc_lo, exec_lo
	s_delay_alu instid0(SALU_CYCLE_1)
	s_or_b32 s2, s2, s5
	s_or_b32 exec_lo, exec_lo, s3
	v_mov_b32_e32 v5, s4
	s_and_saveexec_b32 s3, s2
	s_cbranch_execnz .LBB23_971
	s_branch .LBB23_972
.LBB23_1118:
	s_or_saveexec_b32 s3, s3
                                        ; implicit-def: $sgpr4
	s_delay_alu instid0(SALU_CYCLE_1)
	s_xor_b32 exec_lo, exec_lo, s3
	s_cbranch_execz .LBB23_1052
.LBB23_1119:
	v_add_f32_e64 v1, 0x46000000, |v0|
	s_and_not1_b32 s2, s2, exec_lo
	s_mov_b32 s4, 0
	s_delay_alu instid0(VALU_DEP_1) | instskip(NEXT) | instid1(VALU_DEP_1)
	v_and_b32_e32 v1, 0xff, v1
	v_cmp_ne_u32_e32 vcc_lo, 0, v1
	s_and_b32 s5, vcc_lo, exec_lo
	s_delay_alu instid0(SALU_CYCLE_1)
	s_or_b32 s2, s2, s5
	s_or_b32 exec_lo, exec_lo, s3
	v_mov_b32_e32 v5, s4
	s_and_saveexec_b32 s3, s2
	s_cbranch_execnz .LBB23_1053
	s_branch .LBB23_1054
.LBB23_1120:
	s_or_saveexec_b32 s4, s4
                                        ; implicit-def: $sgpr5
	s_delay_alu instid0(SALU_CYCLE_1)
	s_xor_b32 exec_lo, exec_lo, s4
	s_cbranch_execz .LBB23_631
.LBB23_1121:
	v_add_f32_e64 v1, 0x42800000, |v0|
	s_and_not1_b32 s3, s3, exec_lo
	s_mov_b32 s5, 0
	s_delay_alu instid0(VALU_DEP_1) | instskip(NEXT) | instid1(VALU_DEP_1)
	v_and_b32_e32 v1, 0xff, v1
	v_cmp_ne_u32_e32 vcc_lo, 0, v1
	s_and_b32 s6, vcc_lo, exec_lo
	s_delay_alu instid0(SALU_CYCLE_1)
	s_or_b32 s3, s3, s6
	s_or_b32 exec_lo, exec_lo, s4
	v_mov_b32_e32 v5, s5
	s_and_saveexec_b32 s4, s3
	s_cbranch_execnz .LBB23_632
	s_branch .LBB23_633
.LBB23_1122:
	s_trap 2
	s_sendmsg_rtn_b32 s0, sendmsg(MSG_RTN_GET_DOORBELL)
	s_mov_b32 ttmp2, m0
	s_waitcnt lgkmcnt(0)
	s_and_b32 s0, s0, 0x3ff
	s_delay_alu instid0(SALU_CYCLE_1) | instskip(NEXT) | instid1(SALU_CYCLE_1)
	s_bitset1_b32 s0, 10
	s_mov_b32 m0, s0
	s_sendmsg sendmsg(MSG_INTERRUPT)
	s_mov_b32 m0, ttmp2
.LBB23_1123:                            ; =>This Inner Loop Header: Depth=1
	s_sethalt 5
	s_branch .LBB23_1123
.LBB23_1124:
	s_or_saveexec_b32 s4, s4
                                        ; implicit-def: $sgpr5
	s_delay_alu instid0(SALU_CYCLE_1)
	s_xor_b32 exec_lo, exec_lo, s4
	s_cbranch_execz .LBB23_1064
.LBB23_1125:
	v_add_f32_e64 v1, 0x42800000, |v0|
	s_and_not1_b32 s3, s3, exec_lo
	s_mov_b32 s5, 0
	s_delay_alu instid0(VALU_DEP_1) | instskip(NEXT) | instid1(VALU_DEP_1)
	v_and_b32_e32 v1, 0xff, v1
	v_cmp_ne_u32_e32 vcc_lo, 0, v1
	s_and_b32 s6, vcc_lo, exec_lo
	s_delay_alu instid0(SALU_CYCLE_1)
	s_or_b32 s3, s3, s6
	s_or_b32 exec_lo, exec_lo, s4
	v_mov_b32_e32 v5, s5
	s_and_saveexec_b32 s4, s3
	s_cbranch_execnz .LBB23_1065
	s_branch .LBB23_1066
	.section	.rodata,"a",@progbits
	.p2align	6, 0x0
	.amdhsa_kernel _ZN2at6native32elementwise_kernel_manual_unrollILi128ELi4EZNS0_15gpu_kernel_implIZZZNS0_12_GLOBAL__N_130modified_bessel_k0_kernel_cudaERNS_18TensorIteratorBaseEENKUlvE_clEvENKUlvE0_clEvEUlfE_EEvS5_RKT_EUlibE0_EEviT1_
		.amdhsa_group_segment_fixed_size 0
		.amdhsa_private_segment_fixed_size 0
		.amdhsa_kernarg_size 360
		.amdhsa_user_sgpr_count 15
		.amdhsa_user_sgpr_dispatch_ptr 0
		.amdhsa_user_sgpr_queue_ptr 0
		.amdhsa_user_sgpr_kernarg_segment_ptr 1
		.amdhsa_user_sgpr_dispatch_id 0
		.amdhsa_user_sgpr_private_segment_size 0
		.amdhsa_wavefront_size32 1
		.amdhsa_uses_dynamic_stack 0
		.amdhsa_enable_private_segment 0
		.amdhsa_system_sgpr_workgroup_id_x 1
		.amdhsa_system_sgpr_workgroup_id_y 0
		.amdhsa_system_sgpr_workgroup_id_z 0
		.amdhsa_system_sgpr_workgroup_info 0
		.amdhsa_system_vgpr_workitem_id 0
		.amdhsa_next_free_vgpr 33
		.amdhsa_next_free_sgpr 68
		.amdhsa_reserve_vcc 1
		.amdhsa_float_round_mode_32 0
		.amdhsa_float_round_mode_16_64 0
		.amdhsa_float_denorm_mode_32 3
		.amdhsa_float_denorm_mode_16_64 3
		.amdhsa_dx10_clamp 1
		.amdhsa_ieee_mode 1
		.amdhsa_fp16_overflow 0
		.amdhsa_workgroup_processor_mode 1
		.amdhsa_memory_ordered 1
		.amdhsa_forward_progress 0
		.amdhsa_shared_vgpr_count 0
		.amdhsa_exception_fp_ieee_invalid_op 0
		.amdhsa_exception_fp_denorm_src 0
		.amdhsa_exception_fp_ieee_div_zero 0
		.amdhsa_exception_fp_ieee_overflow 0
		.amdhsa_exception_fp_ieee_underflow 0
		.amdhsa_exception_fp_ieee_inexact 0
		.amdhsa_exception_int_div_zero 0
	.end_amdhsa_kernel
	.section	.text._ZN2at6native32elementwise_kernel_manual_unrollILi128ELi4EZNS0_15gpu_kernel_implIZZZNS0_12_GLOBAL__N_130modified_bessel_k0_kernel_cudaERNS_18TensorIteratorBaseEENKUlvE_clEvENKUlvE0_clEvEUlfE_EEvS5_RKT_EUlibE0_EEviT1_,"axG",@progbits,_ZN2at6native32elementwise_kernel_manual_unrollILi128ELi4EZNS0_15gpu_kernel_implIZZZNS0_12_GLOBAL__N_130modified_bessel_k0_kernel_cudaERNS_18TensorIteratorBaseEENKUlvE_clEvENKUlvE0_clEvEUlfE_EEvS5_RKT_EUlibE0_EEviT1_,comdat
.Lfunc_end23:
	.size	_ZN2at6native32elementwise_kernel_manual_unrollILi128ELi4EZNS0_15gpu_kernel_implIZZZNS0_12_GLOBAL__N_130modified_bessel_k0_kernel_cudaERNS_18TensorIteratorBaseEENKUlvE_clEvENKUlvE0_clEvEUlfE_EEvS5_RKT_EUlibE0_EEviT1_, .Lfunc_end23-_ZN2at6native32elementwise_kernel_manual_unrollILi128ELi4EZNS0_15gpu_kernel_implIZZZNS0_12_GLOBAL__N_130modified_bessel_k0_kernel_cudaERNS_18TensorIteratorBaseEENKUlvE_clEvENKUlvE0_clEvEUlfE_EEvS5_RKT_EUlibE0_EEviT1_
                                        ; -- End function
	.section	.AMDGPU.csdata,"",@progbits
; Kernel info:
; codeLenInByte = 24484
; NumSgprs: 70
; NumVgprs: 33
; ScratchSize: 0
; MemoryBound: 0
; FloatMode: 240
; IeeeMode: 1
; LDSByteSize: 0 bytes/workgroup (compile time only)
; SGPRBlocks: 8
; VGPRBlocks: 4
; NumSGPRsForWavesPerEU: 70
; NumVGPRsForWavesPerEU: 33
; Occupancy: 16
; WaveLimiterHint : 1
; COMPUTE_PGM_RSRC2:SCRATCH_EN: 0
; COMPUTE_PGM_RSRC2:USER_SGPR: 15
; COMPUTE_PGM_RSRC2:TRAP_HANDLER: 0
; COMPUTE_PGM_RSRC2:TGID_X_EN: 1
; COMPUTE_PGM_RSRC2:TGID_Y_EN: 0
; COMPUTE_PGM_RSRC2:TGID_Z_EN: 0
; COMPUTE_PGM_RSRC2:TIDIG_COMP_CNT: 0
	.text
	.p2alignl 7, 3214868480
	.fill 96, 4, 3214868480
	.type	__hip_cuid_1f6fafb08aa8c72b,@object ; @__hip_cuid_1f6fafb08aa8c72b
	.section	.bss,"aw",@nobits
	.globl	__hip_cuid_1f6fafb08aa8c72b
__hip_cuid_1f6fafb08aa8c72b:
	.byte	0                               ; 0x0
	.size	__hip_cuid_1f6fafb08aa8c72b, 1

	.ident	"AMD clang version 19.0.0git (https://github.com/RadeonOpenCompute/llvm-project roc-6.4.0 25133 c7fe45cf4b819c5991fe208aaa96edf142730f1d)"
	.section	".note.GNU-stack","",@progbits
	.addrsig
	.addrsig_sym __hip_cuid_1f6fafb08aa8c72b
	.amdgpu_metadata
---
amdhsa.kernels:
  - .args:
      - .offset:         0
        .size:           4
        .value_kind:     by_value
      - .offset:         4
        .size:           1
        .value_kind:     by_value
      - .offset:         8
        .size:           16
        .value_kind:     by_value
    .group_segment_fixed_size: 0
    .kernarg_segment_align: 8
    .kernarg_segment_size: 24
    .language:       OpenCL C
    .language_version:
      - 2
      - 0
    .max_flat_workgroup_size: 256
    .name:           _ZN2at6native29vectorized_elementwise_kernelILi16EZZZNS0_12_GLOBAL__N_130modified_bessel_k0_kernel_cudaERNS_18TensorIteratorBaseEENKUlvE_clEvENKUlvE_clEvEUldE_St5arrayIPcLm2EEEEviT0_T1_
    .private_segment_fixed_size: 0
    .sgpr_count:     35
    .sgpr_spill_count: 0
    .symbol:         _ZN2at6native29vectorized_elementwise_kernelILi16EZZZNS0_12_GLOBAL__N_130modified_bessel_k0_kernel_cudaERNS_18TensorIteratorBaseEENKUlvE_clEvENKUlvE_clEvEUldE_St5arrayIPcLm2EEEEviT0_T1_.kd
    .uniform_work_group_size: 1
    .uses_dynamic_stack: false
    .vgpr_count:     52
    .vgpr_spill_count: 0
    .wavefront_size: 32
    .workgroup_processor_mode: 1
  - .args:
      - .offset:         0
        .size:           4
        .value_kind:     by_value
      - .offset:         4
        .size:           1
        .value_kind:     by_value
      - .offset:         8
        .size:           16
        .value_kind:     by_value
    .group_segment_fixed_size: 0
    .kernarg_segment_align: 8
    .kernarg_segment_size: 24
    .language:       OpenCL C
    .language_version:
      - 2
      - 0
    .max_flat_workgroup_size: 256
    .name:           _ZN2at6native29vectorized_elementwise_kernelILi8EZZZNS0_12_GLOBAL__N_130modified_bessel_k0_kernel_cudaERNS_18TensorIteratorBaseEENKUlvE_clEvENKUlvE_clEvEUldE_St5arrayIPcLm2EEEEviT0_T1_
    .private_segment_fixed_size: 0
    .sgpr_count:     35
    .sgpr_spill_count: 0
    .symbol:         _ZN2at6native29vectorized_elementwise_kernelILi8EZZZNS0_12_GLOBAL__N_130modified_bessel_k0_kernel_cudaERNS_18TensorIteratorBaseEENKUlvE_clEvENKUlvE_clEvEUldE_St5arrayIPcLm2EEEEviT0_T1_.kd
    .uniform_work_group_size: 1
    .uses_dynamic_stack: false
    .vgpr_count:     52
    .vgpr_spill_count: 0
    .wavefront_size: 32
    .workgroup_processor_mode: 1
  - .args:
      - .offset:         0
        .size:           4
        .value_kind:     by_value
      - .offset:         4
        .size:           1
        .value_kind:     by_value
      - .offset:         8
        .size:           16
        .value_kind:     by_value
    .group_segment_fixed_size: 0
    .kernarg_segment_align: 8
    .kernarg_segment_size: 24
    .language:       OpenCL C
    .language_version:
      - 2
      - 0
    .max_flat_workgroup_size: 256
    .name:           _ZN2at6native29vectorized_elementwise_kernelILi4EZZZNS0_12_GLOBAL__N_130modified_bessel_k0_kernel_cudaERNS_18TensorIteratorBaseEENKUlvE_clEvENKUlvE_clEvEUldE_St5arrayIPcLm2EEEEviT0_T1_
    .private_segment_fixed_size: 0
    .sgpr_count:     35
    .sgpr_spill_count: 0
    .symbol:         _ZN2at6native29vectorized_elementwise_kernelILi4EZZZNS0_12_GLOBAL__N_130modified_bessel_k0_kernel_cudaERNS_18TensorIteratorBaseEENKUlvE_clEvENKUlvE_clEvEUldE_St5arrayIPcLm2EEEEviT0_T1_.kd
    .uniform_work_group_size: 1
    .uses_dynamic_stack: false
    .vgpr_count:     52
    .vgpr_spill_count: 0
    .wavefront_size: 32
    .workgroup_processor_mode: 1
  - .args:
      - .offset:         0
        .size:           4
        .value_kind:     by_value
      - .offset:         4
        .size:           1
        .value_kind:     by_value
      - .offset:         8
        .size:           16
        .value_kind:     by_value
    .group_segment_fixed_size: 0
    .kernarg_segment_align: 8
    .kernarg_segment_size: 24
    .language:       OpenCL C
    .language_version:
      - 2
      - 0
    .max_flat_workgroup_size: 256
    .name:           _ZN2at6native29vectorized_elementwise_kernelILi2EZZZNS0_12_GLOBAL__N_130modified_bessel_k0_kernel_cudaERNS_18TensorIteratorBaseEENKUlvE_clEvENKUlvE_clEvEUldE_St5arrayIPcLm2EEEEviT0_T1_
    .private_segment_fixed_size: 0
    .sgpr_count:     35
    .sgpr_spill_count: 0
    .symbol:         _ZN2at6native29vectorized_elementwise_kernelILi2EZZZNS0_12_GLOBAL__N_130modified_bessel_k0_kernel_cudaERNS_18TensorIteratorBaseEENKUlvE_clEvENKUlvE_clEvEUldE_St5arrayIPcLm2EEEEviT0_T1_.kd
    .uniform_work_group_size: 1
    .uses_dynamic_stack: false
    .vgpr_count:     52
    .vgpr_spill_count: 0
    .wavefront_size: 32
    .workgroup_processor_mode: 1
  - .args:
      - .offset:         0
        .size:           4
        .value_kind:     by_value
      - .offset:         4
        .size:           1
        .value_kind:     by_value
      - .offset:         8
        .size:           16
        .value_kind:     by_value
      - .offset:         24
        .size:           1
        .value_kind:     by_value
      - .offset:         25
        .size:           1
        .value_kind:     by_value
      - .offset:         26
        .size:           1
        .value_kind:     by_value
      - .offset:         27
        .size:           1
        .value_kind:     by_value
    .group_segment_fixed_size: 0
    .kernarg_segment_align: 8
    .kernarg_segment_size: 28
    .language:       OpenCL C
    .language_version:
      - 2
      - 0
    .max_flat_workgroup_size: 256
    .name:           _ZN2at6native27unrolled_elementwise_kernelIZZZNS0_12_GLOBAL__N_130modified_bessel_k0_kernel_cudaERNS_18TensorIteratorBaseEENKUlvE_clEvENKUlvE_clEvEUldE_St5arrayIPcLm2EELi4E23TrivialOffsetCalculatorILi1EjESC_NS0_6memory15LoadWithoutCastENSD_16StoreWithoutCastEEEviT_T0_T2_T3_T4_T5_
    .private_segment_fixed_size: 0
    .sgpr_count:     35
    .sgpr_spill_count: 0
    .symbol:         _ZN2at6native27unrolled_elementwise_kernelIZZZNS0_12_GLOBAL__N_130modified_bessel_k0_kernel_cudaERNS_18TensorIteratorBaseEENKUlvE_clEvENKUlvE_clEvEUldE_St5arrayIPcLm2EELi4E23TrivialOffsetCalculatorILi1EjESC_NS0_6memory15LoadWithoutCastENSD_16StoreWithoutCastEEEviT_T0_T2_T3_T4_T5_.kd
    .uniform_work_group_size: 1
    .uses_dynamic_stack: false
    .vgpr_count:     52
    .vgpr_spill_count: 0
    .wavefront_size: 32
    .workgroup_processor_mode: 1
  - .args:
      - .offset:         0
        .size:           4
        .value_kind:     by_value
      - .offset:         8
        .size:           352
        .value_kind:     by_value
    .group_segment_fixed_size: 0
    .kernarg_segment_align: 8
    .kernarg_segment_size: 360
    .language:       OpenCL C
    .language_version:
      - 2
      - 0
    .max_flat_workgroup_size: 128
    .name:           _ZN2at6native32elementwise_kernel_manual_unrollILi128ELi4EZNS0_22gpu_kernel_impl_nocastIZZZNS0_12_GLOBAL__N_130modified_bessel_k0_kernel_cudaERNS_18TensorIteratorBaseEENKUlvE_clEvENKUlvE_clEvEUldE_EEvS5_RKT_EUlibE_EEviT1_
    .private_segment_fixed_size: 0
    .sgpr_count:     58
    .sgpr_spill_count: 0
    .symbol:         _ZN2at6native32elementwise_kernel_manual_unrollILi128ELi4EZNS0_22gpu_kernel_impl_nocastIZZZNS0_12_GLOBAL__N_130modified_bessel_k0_kernel_cudaERNS_18TensorIteratorBaseEENKUlvE_clEvENKUlvE_clEvEUldE_EEvS5_RKT_EUlibE_EEviT1_.kd
    .uniform_work_group_size: 1
    .uses_dynamic_stack: false
    .vgpr_count:     39
    .vgpr_spill_count: 0
    .wavefront_size: 32
    .workgroup_processor_mode: 1
  - .args:
      - .offset:         0
        .size:           4
        .value_kind:     by_value
      - .offset:         8
        .size:           32
        .value_kind:     by_value
    .group_segment_fixed_size: 0
    .kernarg_segment_align: 8
    .kernarg_segment_size: 40
    .language:       OpenCL C
    .language_version:
      - 2
      - 0
    .max_flat_workgroup_size: 128
    .name:           _ZN2at6native32elementwise_kernel_manual_unrollILi128ELi4EZNS0_15gpu_kernel_implIZZZNS0_12_GLOBAL__N_130modified_bessel_k0_kernel_cudaERNS_18TensorIteratorBaseEENKUlvE_clEvENKUlvE_clEvEUldE_EEvS5_RKT_EUlibE_EEviT1_
    .private_segment_fixed_size: 0
    .sgpr_count:     35
    .sgpr_spill_count: 0
    .symbol:         _ZN2at6native32elementwise_kernel_manual_unrollILi128ELi4EZNS0_15gpu_kernel_implIZZZNS0_12_GLOBAL__N_130modified_bessel_k0_kernel_cudaERNS_18TensorIteratorBaseEENKUlvE_clEvENKUlvE_clEvEUldE_EEvS5_RKT_EUlibE_EEviT1_.kd
    .uniform_work_group_size: 1
    .uses_dynamic_stack: false
    .vgpr_count:     38
    .vgpr_spill_count: 0
    .wavefront_size: 32
    .workgroup_processor_mode: 1
  - .args:
      - .offset:         0
        .size:           4
        .value_kind:     by_value
      - .offset:         8
        .size:           352
        .value_kind:     by_value
    .group_segment_fixed_size: 0
    .kernarg_segment_align: 8
    .kernarg_segment_size: 360
    .language:       OpenCL C
    .language_version:
      - 2
      - 0
    .max_flat_workgroup_size: 128
    .name:           _ZN2at6native32elementwise_kernel_manual_unrollILi128ELi4EZNS0_15gpu_kernel_implIZZZNS0_12_GLOBAL__N_130modified_bessel_k0_kernel_cudaERNS_18TensorIteratorBaseEENKUlvE_clEvENKUlvE_clEvEUldE_EEvS5_RKT_EUlibE0_EEviT1_
    .private_segment_fixed_size: 0
    .sgpr_count:     70
    .sgpr_spill_count: 0
    .symbol:         _ZN2at6native32elementwise_kernel_manual_unrollILi128ELi4EZNS0_15gpu_kernel_implIZZZNS0_12_GLOBAL__N_130modified_bessel_k0_kernel_cudaERNS_18TensorIteratorBaseEENKUlvE_clEvENKUlvE_clEvEUldE_EEvS5_RKT_EUlibE0_EEviT1_.kd
    .uniform_work_group_size: 1
    .uses_dynamic_stack: false
    .vgpr_count:     40
    .vgpr_spill_count: 0
    .wavefront_size: 32
    .workgroup_processor_mode: 1
  - .args:
      - .offset:         0
        .size:           4
        .value_kind:     by_value
      - .offset:         4
        .size:           1
        .value_kind:     by_value
      - .offset:         8
        .size:           16
        .value_kind:     by_value
    .group_segment_fixed_size: 0
    .kernarg_segment_align: 8
    .kernarg_segment_size: 24
    .language:       OpenCL C
    .language_version:
      - 2
      - 0
    .max_flat_workgroup_size: 256
    .name:           _ZN2at6native29vectorized_elementwise_kernelILi16EZZZNS0_12_GLOBAL__N_130modified_bessel_k0_kernel_cudaERNS_18TensorIteratorBaseEENKUlvE_clEvENKUlvE0_clEvEUlfE_St5arrayIPcLm2EEEEviT0_T1_
    .private_segment_fixed_size: 0
    .sgpr_count:     35
    .sgpr_spill_count: 0
    .symbol:         _ZN2at6native29vectorized_elementwise_kernelILi16EZZZNS0_12_GLOBAL__N_130modified_bessel_k0_kernel_cudaERNS_18TensorIteratorBaseEENKUlvE_clEvENKUlvE0_clEvEUlfE_St5arrayIPcLm2EEEEviT0_T1_.kd
    .uniform_work_group_size: 1
    .uses_dynamic_stack: false
    .vgpr_count:     35
    .vgpr_spill_count: 0
    .wavefront_size: 32
    .workgroup_processor_mode: 1
  - .args:
      - .offset:         0
        .size:           4
        .value_kind:     by_value
      - .offset:         4
        .size:           1
        .value_kind:     by_value
      - .offset:         8
        .size:           16
        .value_kind:     by_value
    .group_segment_fixed_size: 0
    .kernarg_segment_align: 8
    .kernarg_segment_size: 24
    .language:       OpenCL C
    .language_version:
      - 2
      - 0
    .max_flat_workgroup_size: 256
    .name:           _ZN2at6native29vectorized_elementwise_kernelILi8EZZZNS0_12_GLOBAL__N_130modified_bessel_k0_kernel_cudaERNS_18TensorIteratorBaseEENKUlvE_clEvENKUlvE0_clEvEUlfE_St5arrayIPcLm2EEEEviT0_T1_
    .private_segment_fixed_size: 0
    .sgpr_count:     35
    .sgpr_spill_count: 0
    .symbol:         _ZN2at6native29vectorized_elementwise_kernelILi8EZZZNS0_12_GLOBAL__N_130modified_bessel_k0_kernel_cudaERNS_18TensorIteratorBaseEENKUlvE_clEvENKUlvE0_clEvEUlfE_St5arrayIPcLm2EEEEviT0_T1_.kd
    .uniform_work_group_size: 1
    .uses_dynamic_stack: false
    .vgpr_count:     35
    .vgpr_spill_count: 0
    .wavefront_size: 32
    .workgroup_processor_mode: 1
  - .args:
      - .offset:         0
        .size:           4
        .value_kind:     by_value
      - .offset:         4
        .size:           1
        .value_kind:     by_value
      - .offset:         8
        .size:           16
        .value_kind:     by_value
    .group_segment_fixed_size: 0
    .kernarg_segment_align: 8
    .kernarg_segment_size: 24
    .language:       OpenCL C
    .language_version:
      - 2
      - 0
    .max_flat_workgroup_size: 256
    .name:           _ZN2at6native29vectorized_elementwise_kernelILi4EZZZNS0_12_GLOBAL__N_130modified_bessel_k0_kernel_cudaERNS_18TensorIteratorBaseEENKUlvE_clEvENKUlvE0_clEvEUlfE_St5arrayIPcLm2EEEEviT0_T1_
    .private_segment_fixed_size: 0
    .sgpr_count:     35
    .sgpr_spill_count: 0
    .symbol:         _ZN2at6native29vectorized_elementwise_kernelILi4EZZZNS0_12_GLOBAL__N_130modified_bessel_k0_kernel_cudaERNS_18TensorIteratorBaseEENKUlvE_clEvENKUlvE0_clEvEUlfE_St5arrayIPcLm2EEEEviT0_T1_.kd
    .uniform_work_group_size: 1
    .uses_dynamic_stack: false
    .vgpr_count:     35
    .vgpr_spill_count: 0
    .wavefront_size: 32
    .workgroup_processor_mode: 1
  - .args:
      - .offset:         0
        .size:           4
        .value_kind:     by_value
      - .offset:         4
        .size:           1
        .value_kind:     by_value
      - .offset:         8
        .size:           16
        .value_kind:     by_value
    .group_segment_fixed_size: 0
    .kernarg_segment_align: 8
    .kernarg_segment_size: 24
    .language:       OpenCL C
    .language_version:
      - 2
      - 0
    .max_flat_workgroup_size: 256
    .name:           _ZN2at6native29vectorized_elementwise_kernelILi2EZZZNS0_12_GLOBAL__N_130modified_bessel_k0_kernel_cudaERNS_18TensorIteratorBaseEENKUlvE_clEvENKUlvE0_clEvEUlfE_St5arrayIPcLm2EEEEviT0_T1_
    .private_segment_fixed_size: 0
    .sgpr_count:     35
    .sgpr_spill_count: 0
    .symbol:         _ZN2at6native29vectorized_elementwise_kernelILi2EZZZNS0_12_GLOBAL__N_130modified_bessel_k0_kernel_cudaERNS_18TensorIteratorBaseEENKUlvE_clEvENKUlvE0_clEvEUlfE_St5arrayIPcLm2EEEEviT0_T1_.kd
    .uniform_work_group_size: 1
    .uses_dynamic_stack: false
    .vgpr_count:     35
    .vgpr_spill_count: 0
    .wavefront_size: 32
    .workgroup_processor_mode: 1
  - .args:
      - .offset:         0
        .size:           4
        .value_kind:     by_value
      - .offset:         4
        .size:           1
        .value_kind:     by_value
      - .offset:         8
        .size:           16
        .value_kind:     by_value
      - .offset:         24
        .size:           1
        .value_kind:     by_value
      - .offset:         25
        .size:           1
        .value_kind:     by_value
      - .offset:         26
        .size:           1
        .value_kind:     by_value
      - .offset:         27
        .size:           1
        .value_kind:     by_value
    .group_segment_fixed_size: 0
    .kernarg_segment_align: 8
    .kernarg_segment_size: 28
    .language:       OpenCL C
    .language_version:
      - 2
      - 0
    .max_flat_workgroup_size: 256
    .name:           _ZN2at6native27unrolled_elementwise_kernelIZZZNS0_12_GLOBAL__N_130modified_bessel_k0_kernel_cudaERNS_18TensorIteratorBaseEENKUlvE_clEvENKUlvE0_clEvEUlfE_St5arrayIPcLm2EELi4E23TrivialOffsetCalculatorILi1EjESC_NS0_6memory15LoadWithoutCastENSD_16StoreWithoutCastEEEviT_T0_T2_T3_T4_T5_
    .private_segment_fixed_size: 0
    .sgpr_count:     35
    .sgpr_spill_count: 0
    .symbol:         _ZN2at6native27unrolled_elementwise_kernelIZZZNS0_12_GLOBAL__N_130modified_bessel_k0_kernel_cudaERNS_18TensorIteratorBaseEENKUlvE_clEvENKUlvE0_clEvEUlfE_St5arrayIPcLm2EELi4E23TrivialOffsetCalculatorILi1EjESC_NS0_6memory15LoadWithoutCastENSD_16StoreWithoutCastEEEviT_T0_T2_T3_T4_T5_.kd
    .uniform_work_group_size: 1
    .uses_dynamic_stack: false
    .vgpr_count:     35
    .vgpr_spill_count: 0
    .wavefront_size: 32
    .workgroup_processor_mode: 1
  - .args:
      - .offset:         0
        .size:           4
        .value_kind:     by_value
      - .offset:         8
        .size:           352
        .value_kind:     by_value
    .group_segment_fixed_size: 0
    .kernarg_segment_align: 8
    .kernarg_segment_size: 360
    .language:       OpenCL C
    .language_version:
      - 2
      - 0
    .max_flat_workgroup_size: 128
    .name:           _ZN2at6native32elementwise_kernel_manual_unrollILi128ELi4EZNS0_22gpu_kernel_impl_nocastIZZZNS0_12_GLOBAL__N_130modified_bessel_k0_kernel_cudaERNS_18TensorIteratorBaseEENKUlvE_clEvENKUlvE0_clEvEUlfE_EEvS5_RKT_EUlibE_EEviT1_
    .private_segment_fixed_size: 0
    .sgpr_count:     58
    .sgpr_spill_count: 0
    .symbol:         _ZN2at6native32elementwise_kernel_manual_unrollILi128ELi4EZNS0_22gpu_kernel_impl_nocastIZZZNS0_12_GLOBAL__N_130modified_bessel_k0_kernel_cudaERNS_18TensorIteratorBaseEENKUlvE_clEvENKUlvE0_clEvEUlfE_EEvS5_RKT_EUlibE_EEviT1_.kd
    .uniform_work_group_size: 1
    .uses_dynamic_stack: false
    .vgpr_count:     30
    .vgpr_spill_count: 0
    .wavefront_size: 32
    .workgroup_processor_mode: 1
  - .args:
      - .offset:         0
        .size:           4
        .value_kind:     by_value
      - .offset:         8
        .size:           32
        .value_kind:     by_value
    .group_segment_fixed_size: 0
    .kernarg_segment_align: 8
    .kernarg_segment_size: 40
    .language:       OpenCL C
    .language_version:
      - 2
      - 0
    .max_flat_workgroup_size: 128
    .name:           _ZN2at6native32elementwise_kernel_manual_unrollILi128ELi4EZNS0_15gpu_kernel_implIZZZNS0_12_GLOBAL__N_130modified_bessel_k0_kernel_cudaERNS_18TensorIteratorBaseEENKUlvE_clEvENKUlvE0_clEvEUlfE_EEvS5_RKT_EUlibE_EEviT1_
    .private_segment_fixed_size: 0
    .sgpr_count:     35
    .sgpr_spill_count: 0
    .symbol:         _ZN2at6native32elementwise_kernel_manual_unrollILi128ELi4EZNS0_15gpu_kernel_implIZZZNS0_12_GLOBAL__N_130modified_bessel_k0_kernel_cudaERNS_18TensorIteratorBaseEENKUlvE_clEvENKUlvE0_clEvEUlfE_EEvS5_RKT_EUlibE_EEviT1_.kd
    .uniform_work_group_size: 1
    .uses_dynamic_stack: false
    .vgpr_count:     31
    .vgpr_spill_count: 0
    .wavefront_size: 32
    .workgroup_processor_mode: 1
  - .args:
      - .offset:         0
        .size:           4
        .value_kind:     by_value
      - .offset:         8
        .size:           352
        .value_kind:     by_value
    .group_segment_fixed_size: 0
    .kernarg_segment_align: 8
    .kernarg_segment_size: 360
    .language:       OpenCL C
    .language_version:
      - 2
      - 0
    .max_flat_workgroup_size: 128
    .name:           _ZN2at6native32elementwise_kernel_manual_unrollILi128ELi4EZNS0_15gpu_kernel_implIZZZNS0_12_GLOBAL__N_130modified_bessel_k0_kernel_cudaERNS_18TensorIteratorBaseEENKUlvE_clEvENKUlvE0_clEvEUlfE_EEvS5_RKT_EUlibE0_EEviT1_
    .private_segment_fixed_size: 0
    .sgpr_count:     70
    .sgpr_spill_count: 0
    .symbol:         _ZN2at6native32elementwise_kernel_manual_unrollILi128ELi4EZNS0_15gpu_kernel_implIZZZNS0_12_GLOBAL__N_130modified_bessel_k0_kernel_cudaERNS_18TensorIteratorBaseEENKUlvE_clEvENKUlvE0_clEvEUlfE_EEvS5_RKT_EUlibE0_EEviT1_.kd
    .uniform_work_group_size: 1
    .uses_dynamic_stack: false
    .vgpr_count:     33
    .vgpr_spill_count: 0
    .wavefront_size: 32
    .workgroup_processor_mode: 1
amdhsa.target:   amdgcn-amd-amdhsa--gfx1100
amdhsa.version:
  - 1
  - 2
...

	.end_amdgpu_metadata
